;; amdgpu-corpus repo=ROCm/rocFFT kind=compiled arch=gfx1100 opt=O3
	.text
	.amdgcn_target "amdgcn-amd-amdhsa--gfx1100"
	.amdhsa_code_object_version 6
	.protected	fft_rtc_back_len1950_factors_13_5_10_3_wgs_195_tpt_195_dp_ip_CI_unitstride_sbrr_C2R_dirReg ; -- Begin function fft_rtc_back_len1950_factors_13_5_10_3_wgs_195_tpt_195_dp_ip_CI_unitstride_sbrr_C2R_dirReg
	.globl	fft_rtc_back_len1950_factors_13_5_10_3_wgs_195_tpt_195_dp_ip_CI_unitstride_sbrr_C2R_dirReg
	.p2align	8
	.type	fft_rtc_back_len1950_factors_13_5_10_3_wgs_195_tpt_195_dp_ip_CI_unitstride_sbrr_C2R_dirReg,@function
fft_rtc_back_len1950_factors_13_5_10_3_wgs_195_tpt_195_dp_ip_CI_unitstride_sbrr_C2R_dirReg: ; @fft_rtc_back_len1950_factors_13_5_10_3_wgs_195_tpt_195_dp_ip_CI_unitstride_sbrr_C2R_dirReg
; %bb.0:
	s_clause 0x2
	s_load_b128 s[4:7], s[0:1], 0x0
	s_load_b64 s[8:9], s[0:1], 0x50
	s_load_b64 s[10:11], s[0:1], 0x18
	v_mul_u32_u24_e32 v1, 0x151, v0
	v_mov_b32_e32 v3, 0
	v_mov_b32_e32 v4, 0
	s_delay_alu instid0(VALU_DEP_3) | instskip(SKIP_1) | instid1(VALU_DEP_1)
	v_lshrrev_b32_e32 v2, 16, v1
	v_mov_b32_e32 v1, 0
	v_dual_mov_b32 v6, v1 :: v_dual_add_nc_u32 v5, s15, v2
	s_waitcnt lgkmcnt(0)
	v_cmp_lt_u64_e64 s2, s[6:7], 2
	s_delay_alu instid0(VALU_DEP_1)
	s_and_b32 vcc_lo, exec_lo, s2
	s_cbranch_vccnz .LBB0_8
; %bb.1:
	s_load_b64 s[2:3], s[0:1], 0x10
	v_mov_b32_e32 v3, 0
	s_add_u32 s12, s10, 8
	v_mov_b32_e32 v4, 0
	s_addc_u32 s13, s11, 0
	s_mov_b64 s[16:17], 1
	s_waitcnt lgkmcnt(0)
	s_add_u32 s14, s2, 8
	s_addc_u32 s15, s3, 0
.LBB0_2:                                ; =>This Inner Loop Header: Depth=1
	s_load_b64 s[18:19], s[14:15], 0x0
                                        ; implicit-def: $vgpr7_vgpr8
	s_mov_b32 s2, exec_lo
	s_waitcnt lgkmcnt(0)
	v_or_b32_e32 v2, s19, v6
	s_delay_alu instid0(VALU_DEP_1)
	v_cmpx_ne_u64_e32 0, v[1:2]
	s_xor_b32 s3, exec_lo, s2
	s_cbranch_execz .LBB0_4
; %bb.3:                                ;   in Loop: Header=BB0_2 Depth=1
	v_cvt_f32_u32_e32 v2, s18
	v_cvt_f32_u32_e32 v7, s19
	s_sub_u32 s2, 0, s18
	s_subb_u32 s20, 0, s19
	s_delay_alu instid0(VALU_DEP_1) | instskip(NEXT) | instid1(VALU_DEP_1)
	v_fmac_f32_e32 v2, 0x4f800000, v7
	v_rcp_f32_e32 v2, v2
	s_waitcnt_depctr 0xfff
	v_mul_f32_e32 v2, 0x5f7ffffc, v2
	s_delay_alu instid0(VALU_DEP_1) | instskip(NEXT) | instid1(VALU_DEP_1)
	v_mul_f32_e32 v7, 0x2f800000, v2
	v_trunc_f32_e32 v7, v7
	s_delay_alu instid0(VALU_DEP_1) | instskip(SKIP_1) | instid1(VALU_DEP_2)
	v_fmac_f32_e32 v2, 0xcf800000, v7
	v_cvt_u32_f32_e32 v7, v7
	v_cvt_u32_f32_e32 v2, v2
	s_delay_alu instid0(VALU_DEP_2) | instskip(NEXT) | instid1(VALU_DEP_2)
	v_mul_lo_u32 v8, s2, v7
	v_mul_hi_u32 v9, s2, v2
	v_mul_lo_u32 v10, s20, v2
	s_delay_alu instid0(VALU_DEP_2) | instskip(SKIP_1) | instid1(VALU_DEP_2)
	v_add_nc_u32_e32 v8, v9, v8
	v_mul_lo_u32 v9, s2, v2
	v_add_nc_u32_e32 v8, v8, v10
	s_delay_alu instid0(VALU_DEP_2) | instskip(NEXT) | instid1(VALU_DEP_2)
	v_mul_hi_u32 v10, v2, v9
	v_mul_lo_u32 v11, v2, v8
	v_mul_hi_u32 v12, v2, v8
	v_mul_hi_u32 v13, v7, v9
	v_mul_lo_u32 v9, v7, v9
	v_mul_hi_u32 v14, v7, v8
	v_mul_lo_u32 v8, v7, v8
	v_add_co_u32 v10, vcc_lo, v10, v11
	v_add_co_ci_u32_e32 v11, vcc_lo, 0, v12, vcc_lo
	s_delay_alu instid0(VALU_DEP_2) | instskip(NEXT) | instid1(VALU_DEP_2)
	v_add_co_u32 v9, vcc_lo, v10, v9
	v_add_co_ci_u32_e32 v9, vcc_lo, v11, v13, vcc_lo
	v_add_co_ci_u32_e32 v10, vcc_lo, 0, v14, vcc_lo
	s_delay_alu instid0(VALU_DEP_2) | instskip(NEXT) | instid1(VALU_DEP_2)
	v_add_co_u32 v8, vcc_lo, v9, v8
	v_add_co_ci_u32_e32 v9, vcc_lo, 0, v10, vcc_lo
	s_delay_alu instid0(VALU_DEP_2) | instskip(NEXT) | instid1(VALU_DEP_2)
	v_add_co_u32 v2, vcc_lo, v2, v8
	v_add_co_ci_u32_e32 v7, vcc_lo, v7, v9, vcc_lo
	s_delay_alu instid0(VALU_DEP_2) | instskip(SKIP_1) | instid1(VALU_DEP_3)
	v_mul_hi_u32 v8, s2, v2
	v_mul_lo_u32 v10, s20, v2
	v_mul_lo_u32 v9, s2, v7
	s_delay_alu instid0(VALU_DEP_1) | instskip(SKIP_1) | instid1(VALU_DEP_2)
	v_add_nc_u32_e32 v8, v8, v9
	v_mul_lo_u32 v9, s2, v2
	v_add_nc_u32_e32 v8, v8, v10
	s_delay_alu instid0(VALU_DEP_2) | instskip(NEXT) | instid1(VALU_DEP_2)
	v_mul_hi_u32 v10, v2, v9
	v_mul_lo_u32 v11, v2, v8
	v_mul_hi_u32 v12, v2, v8
	v_mul_hi_u32 v13, v7, v9
	v_mul_lo_u32 v9, v7, v9
	v_mul_hi_u32 v14, v7, v8
	v_mul_lo_u32 v8, v7, v8
	v_add_co_u32 v10, vcc_lo, v10, v11
	v_add_co_ci_u32_e32 v11, vcc_lo, 0, v12, vcc_lo
	s_delay_alu instid0(VALU_DEP_2) | instskip(NEXT) | instid1(VALU_DEP_2)
	v_add_co_u32 v9, vcc_lo, v10, v9
	v_add_co_ci_u32_e32 v9, vcc_lo, v11, v13, vcc_lo
	v_add_co_ci_u32_e32 v10, vcc_lo, 0, v14, vcc_lo
	s_delay_alu instid0(VALU_DEP_2) | instskip(NEXT) | instid1(VALU_DEP_2)
	v_add_co_u32 v8, vcc_lo, v9, v8
	v_add_co_ci_u32_e32 v9, vcc_lo, 0, v10, vcc_lo
	s_delay_alu instid0(VALU_DEP_2) | instskip(NEXT) | instid1(VALU_DEP_2)
	v_add_co_u32 v2, vcc_lo, v2, v8
	v_add_co_ci_u32_e32 v13, vcc_lo, v7, v9, vcc_lo
	s_delay_alu instid0(VALU_DEP_2) | instskip(SKIP_1) | instid1(VALU_DEP_3)
	v_mul_hi_u32 v14, v5, v2
	v_mad_u64_u32 v[9:10], null, v6, v2, 0
	v_mad_u64_u32 v[7:8], null, v5, v13, 0
	;; [unrolled: 1-line block ×3, first 2 shown]
	s_delay_alu instid0(VALU_DEP_2) | instskip(NEXT) | instid1(VALU_DEP_3)
	v_add_co_u32 v2, vcc_lo, v14, v7
	v_add_co_ci_u32_e32 v7, vcc_lo, 0, v8, vcc_lo
	s_delay_alu instid0(VALU_DEP_2) | instskip(NEXT) | instid1(VALU_DEP_2)
	v_add_co_u32 v2, vcc_lo, v2, v9
	v_add_co_ci_u32_e32 v2, vcc_lo, v7, v10, vcc_lo
	v_add_co_ci_u32_e32 v7, vcc_lo, 0, v12, vcc_lo
	s_delay_alu instid0(VALU_DEP_2) | instskip(NEXT) | instid1(VALU_DEP_2)
	v_add_co_u32 v2, vcc_lo, v2, v11
	v_add_co_ci_u32_e32 v9, vcc_lo, 0, v7, vcc_lo
	s_delay_alu instid0(VALU_DEP_2) | instskip(SKIP_1) | instid1(VALU_DEP_3)
	v_mul_lo_u32 v10, s19, v2
	v_mad_u64_u32 v[7:8], null, s18, v2, 0
	v_mul_lo_u32 v11, s18, v9
	s_delay_alu instid0(VALU_DEP_2) | instskip(NEXT) | instid1(VALU_DEP_2)
	v_sub_co_u32 v7, vcc_lo, v5, v7
	v_add3_u32 v8, v8, v11, v10
	s_delay_alu instid0(VALU_DEP_1) | instskip(NEXT) | instid1(VALU_DEP_1)
	v_sub_nc_u32_e32 v10, v6, v8
	v_subrev_co_ci_u32_e64 v10, s2, s19, v10, vcc_lo
	v_add_co_u32 v11, s2, v2, 2
	s_delay_alu instid0(VALU_DEP_1) | instskip(SKIP_3) | instid1(VALU_DEP_3)
	v_add_co_ci_u32_e64 v12, s2, 0, v9, s2
	v_sub_co_u32 v13, s2, v7, s18
	v_sub_co_ci_u32_e32 v8, vcc_lo, v6, v8, vcc_lo
	v_subrev_co_ci_u32_e64 v10, s2, 0, v10, s2
	v_cmp_le_u32_e32 vcc_lo, s18, v13
	s_delay_alu instid0(VALU_DEP_3) | instskip(SKIP_1) | instid1(VALU_DEP_4)
	v_cmp_eq_u32_e64 s2, s19, v8
	v_cndmask_b32_e64 v13, 0, -1, vcc_lo
	v_cmp_le_u32_e32 vcc_lo, s19, v10
	v_cndmask_b32_e64 v14, 0, -1, vcc_lo
	v_cmp_le_u32_e32 vcc_lo, s18, v7
	;; [unrolled: 2-line block ×3, first 2 shown]
	v_cndmask_b32_e64 v15, 0, -1, vcc_lo
	v_cmp_eq_u32_e32 vcc_lo, s19, v10
	s_delay_alu instid0(VALU_DEP_2) | instskip(SKIP_3) | instid1(VALU_DEP_3)
	v_cndmask_b32_e64 v7, v15, v7, s2
	v_cndmask_b32_e32 v10, v14, v13, vcc_lo
	v_add_co_u32 v13, vcc_lo, v2, 1
	v_add_co_ci_u32_e32 v14, vcc_lo, 0, v9, vcc_lo
	v_cmp_ne_u32_e32 vcc_lo, 0, v10
	s_delay_alu instid0(VALU_DEP_2) | instskip(NEXT) | instid1(VALU_DEP_4)
	v_cndmask_b32_e32 v8, v14, v12, vcc_lo
	v_cndmask_b32_e32 v10, v13, v11, vcc_lo
	v_cmp_ne_u32_e32 vcc_lo, 0, v7
	s_delay_alu instid0(VALU_DEP_2)
	v_dual_cndmask_b32 v7, v2, v10 :: v_dual_cndmask_b32 v8, v9, v8
.LBB0_4:                                ;   in Loop: Header=BB0_2 Depth=1
	s_and_not1_saveexec_b32 s2, s3
	s_cbranch_execz .LBB0_6
; %bb.5:                                ;   in Loop: Header=BB0_2 Depth=1
	v_cvt_f32_u32_e32 v2, s18
	s_sub_i32 s3, 0, s18
	s_delay_alu instid0(VALU_DEP_1) | instskip(SKIP_2) | instid1(VALU_DEP_1)
	v_rcp_iflag_f32_e32 v2, v2
	s_waitcnt_depctr 0xfff
	v_mul_f32_e32 v2, 0x4f7ffffe, v2
	v_cvt_u32_f32_e32 v2, v2
	s_delay_alu instid0(VALU_DEP_1) | instskip(NEXT) | instid1(VALU_DEP_1)
	v_mul_lo_u32 v7, s3, v2
	v_mul_hi_u32 v7, v2, v7
	s_delay_alu instid0(VALU_DEP_1) | instskip(NEXT) | instid1(VALU_DEP_1)
	v_add_nc_u32_e32 v2, v2, v7
	v_mul_hi_u32 v2, v5, v2
	s_delay_alu instid0(VALU_DEP_1) | instskip(SKIP_1) | instid1(VALU_DEP_2)
	v_mul_lo_u32 v7, v2, s18
	v_add_nc_u32_e32 v8, 1, v2
	v_sub_nc_u32_e32 v7, v5, v7
	s_delay_alu instid0(VALU_DEP_1) | instskip(SKIP_1) | instid1(VALU_DEP_2)
	v_subrev_nc_u32_e32 v9, s18, v7
	v_cmp_le_u32_e32 vcc_lo, s18, v7
	v_dual_cndmask_b32 v7, v7, v9 :: v_dual_cndmask_b32 v2, v2, v8
	s_delay_alu instid0(VALU_DEP_1) | instskip(NEXT) | instid1(VALU_DEP_2)
	v_cmp_le_u32_e32 vcc_lo, s18, v7
	v_add_nc_u32_e32 v8, 1, v2
	s_delay_alu instid0(VALU_DEP_1)
	v_dual_cndmask_b32 v7, v2, v8 :: v_dual_mov_b32 v8, v1
.LBB0_6:                                ;   in Loop: Header=BB0_2 Depth=1
	s_or_b32 exec_lo, exec_lo, s2
	s_load_b64 s[2:3], s[12:13], 0x0
	s_delay_alu instid0(VALU_DEP_1) | instskip(NEXT) | instid1(VALU_DEP_2)
	v_mul_lo_u32 v2, v8, s18
	v_mul_lo_u32 v11, v7, s19
	v_mad_u64_u32 v[9:10], null, v7, s18, 0
	s_add_u32 s16, s16, 1
	s_addc_u32 s17, s17, 0
	s_add_u32 s12, s12, 8
	s_addc_u32 s13, s13, 0
	;; [unrolled: 2-line block ×3, first 2 shown]
	s_delay_alu instid0(VALU_DEP_1) | instskip(SKIP_1) | instid1(VALU_DEP_2)
	v_add3_u32 v2, v10, v11, v2
	v_sub_co_u32 v9, vcc_lo, v5, v9
	v_sub_co_ci_u32_e32 v2, vcc_lo, v6, v2, vcc_lo
	s_waitcnt lgkmcnt(0)
	s_delay_alu instid0(VALU_DEP_2) | instskip(NEXT) | instid1(VALU_DEP_2)
	v_mul_lo_u32 v10, s3, v9
	v_mul_lo_u32 v2, s2, v2
	v_mad_u64_u32 v[5:6], null, s2, v9, v[3:4]
	v_cmp_ge_u64_e64 s2, s[16:17], s[6:7]
	s_delay_alu instid0(VALU_DEP_1) | instskip(NEXT) | instid1(VALU_DEP_2)
	s_and_b32 vcc_lo, exec_lo, s2
	v_add3_u32 v4, v10, v6, v2
	s_delay_alu instid0(VALU_DEP_3)
	v_mov_b32_e32 v3, v5
	s_cbranch_vccnz .LBB0_9
; %bb.7:                                ;   in Loop: Header=BB0_2 Depth=1
	v_dual_mov_b32 v5, v7 :: v_dual_mov_b32 v6, v8
	s_branch .LBB0_2
.LBB0_8:
	v_dual_mov_b32 v8, v6 :: v_dual_mov_b32 v7, v5
.LBB0_9:
	s_lshl_b64 s[2:3], s[6:7], 3
	s_delay_alu instid0(SALU_CYCLE_1)
	s_add_u32 s2, s10, s2
	s_addc_u32 s3, s11, s3
	s_load_b64 s[2:3], s[2:3], 0x0
	s_load_b64 s[0:1], s[0:1], 0x20
	s_waitcnt lgkmcnt(0)
	v_mul_lo_u32 v5, s2, v8
	v_mul_lo_u32 v6, s3, v7
	v_mad_u64_u32 v[1:2], null, s2, v7, v[3:4]
	v_mul_hi_u32 v3, 0x1501502, v0
	v_cmp_gt_u64_e32 vcc_lo, s[0:1], v[7:8]
	s_delay_alu instid0(VALU_DEP_3) | instskip(NEXT) | instid1(VALU_DEP_3)
	v_add3_u32 v2, v6, v2, v5
	v_mul_u32_u24_e32 v3, 0xc3, v3
	s_delay_alu instid0(VALU_DEP_2) | instskip(NEXT) | instid1(VALU_DEP_2)
	v_lshlrev_b64 v[62:63], 4, v[1:2]
	v_sub_nc_u32_e32 v60, v0, v3
	s_and_saveexec_b32 s1, vcc_lo
	s_cbranch_execz .LBB0_13
; %bb.10:
	v_mov_b32_e32 v61, 0
	s_delay_alu instid0(VALU_DEP_3) | instskip(NEXT) | instid1(VALU_DEP_1)
	v_add_co_u32 v0, s0, s8, v62
	v_add_co_ci_u32_e64 v1, s0, s9, v63, s0
	s_delay_alu instid0(VALU_DEP_3) | instskip(SKIP_2) | instid1(VALU_DEP_2)
	v_lshlrev_b64 v[2:3], 4, v[60:61]
	v_lshl_add_u32 v42, v60, 4, 0
	s_mov_b32 s2, exec_lo
	v_add_co_u32 v18, s0, v0, v2
	s_delay_alu instid0(VALU_DEP_1) | instskip(NEXT) | instid1(VALU_DEP_2)
	v_add_co_ci_u32_e64 v19, s0, v1, v3, s0
	v_add_co_u32 v10, s0, 0x1000, v18
	s_delay_alu instid0(VALU_DEP_1) | instskip(SKIP_1) | instid1(VALU_DEP_1)
	v_add_co_ci_u32_e64 v11, s0, 0, v19, s0
	v_add_co_u32 v14, s0, 0x2000, v18
	v_add_co_ci_u32_e64 v15, s0, 0, v19, s0
	v_add_co_u32 v22, s0, 0x3000, v18
	s_delay_alu instid0(VALU_DEP_1) | instskip(SKIP_1) | instid1(VALU_DEP_1)
	v_add_co_ci_u32_e64 v23, s0, 0, v19, s0
	v_add_co_u32 v26, s0, 0x4000, v18
	;; [unrolled: 5-line block ×3, first 2 shown]
	v_add_co_ci_u32_e64 v39, s0, 0, v19, s0
	s_clause 0x9
	global_load_b128 v[2:5], v[18:19], off
	global_load_b128 v[6:9], v[18:19], off offset:3120
	global_load_b128 v[10:13], v[10:11], off offset:2144
	;; [unrolled: 1-line block ×9, first 2 shown]
	s_waitcnt vmcnt(9)
	ds_store_b128 v42, v[2:5]
	s_waitcnt vmcnt(8)
	ds_store_b128 v42, v[6:9] offset:3120
	s_waitcnt vmcnt(7)
	ds_store_b128 v42, v[10:13] offset:6240
	;; [unrolled: 2-line block ×9, first 2 shown]
	v_cmpx_eq_u32_e32 0xc2, v60
	s_cbranch_execz .LBB0_12
; %bb.11:
	v_add_co_u32 v0, s0, 0x7000, v0
	s_delay_alu instid0(VALU_DEP_1)
	v_add_co_ci_u32_e64 v1, s0, 0, v1, s0
	v_mov_b32_e32 v60, 0xc2
	global_load_b128 v[0:3], v[0:1], off offset:2528
	s_waitcnt vmcnt(0)
	ds_store_b128 v61, v[0:3] offset:31200
.LBB0_12:
	s_or_b32 exec_lo, exec_lo, s2
.LBB0_13:
	s_delay_alu instid0(SALU_CYCLE_1) | instskip(NEXT) | instid1(VALU_DEP_1)
	s_or_b32 exec_lo, exec_lo, s1
	v_lshlrev_b32_e32 v0, 4, v60
	s_waitcnt lgkmcnt(0)
	s_barrier
	buffer_gl0_inv
	s_add_u32 s1, s4, 0x7910
	v_add_nc_u32_e32 v160, 0, v0
	v_sub_nc_u32_e32 v10, 0, v0
	s_addc_u32 s2, s5, 0
	s_mov_b32 s3, exec_lo
                                        ; implicit-def: $vgpr4_vgpr5
	ds_load_b64 v[6:7], v160
	ds_load_b64 v[8:9], v10 offset:31200
	s_waitcnt lgkmcnt(0)
	v_add_f64 v[0:1], v[6:7], v[8:9]
	v_add_f64 v[2:3], v[6:7], -v[8:9]
	v_cmpx_ne_u32_e32 0, v60
	s_xor_b32 s3, exec_lo, s3
	s_cbranch_execz .LBB0_15
; %bb.14:
	v_mov_b32_e32 v61, 0
	v_add_f64 v[13:14], v[6:7], v[8:9]
	v_add_f64 v[15:16], v[6:7], -v[8:9]
	s_delay_alu instid0(VALU_DEP_3) | instskip(NEXT) | instid1(VALU_DEP_1)
	v_lshlrev_b64 v[0:1], 4, v[60:61]
	v_add_co_u32 v0, s0, s1, v0
	s_delay_alu instid0(VALU_DEP_1)
	v_add_co_ci_u32_e64 v1, s0, s2, v1, s0
	global_load_b128 v[2:5], v[0:1], off
	ds_load_b64 v[0:1], v10 offset:31208
	ds_load_b64 v[11:12], v160 offset:8
	s_waitcnt lgkmcnt(0)
	v_add_f64 v[6:7], v[0:1], v[11:12]
	v_add_f64 v[0:1], v[11:12], -v[0:1]
	s_waitcnt vmcnt(0)
	v_fma_f64 v[8:9], v[15:16], v[4:5], v[13:14]
	v_fma_f64 v[11:12], -v[15:16], v[4:5], v[13:14]
	s_delay_alu instid0(VALU_DEP_3) | instskip(SKIP_1) | instid1(VALU_DEP_4)
	v_fma_f64 v[13:14], v[6:7], v[4:5], -v[0:1]
	v_fma_f64 v[4:5], v[6:7], v[4:5], v[0:1]
	v_fma_f64 v[0:1], -v[6:7], v[2:3], v[8:9]
	s_delay_alu instid0(VALU_DEP_4) | instskip(NEXT) | instid1(VALU_DEP_4)
	v_fma_f64 v[6:7], v[6:7], v[2:3], v[11:12]
	v_fma_f64 v[8:9], v[15:16], v[2:3], v[13:14]
	s_delay_alu instid0(VALU_DEP_4)
	v_fma_f64 v[2:3], v[15:16], v[2:3], v[4:5]
	v_dual_mov_b32 v4, v60 :: v_dual_mov_b32 v5, v61
	ds_store_b128 v10, v[6:9] offset:31200
.LBB0_15:
	s_and_not1_saveexec_b32 s0, s3
	s_cbranch_execz .LBB0_17
; %bb.16:
	v_mov_b32_e32 v8, 0
	ds_load_b128 v[4:7], v8 offset:15600
	s_waitcnt lgkmcnt(0)
	v_add_f64 v[11:12], v[4:5], v[4:5]
	v_mul_f64 v[13:14], v[6:7], -2.0
	v_mov_b32_e32 v4, 0
	v_mov_b32_e32 v5, 0
	ds_store_b128 v8, v[11:14] offset:15600
.LBB0_17:
	s_or_b32 exec_lo, exec_lo, s0
	v_lshlrev_b64 v[4:5], 4, v[4:5]
	ds_store_b128 v160, v[0:3]
	s_mov_b32 s22, 0x42a4c3d2
	s_mov_b32 s6, 0xebaa3ed8
	;; [unrolled: 1-line block ×4, first 2 shown]
	v_add_co_u32 v23, s0, s1, v4
	s_delay_alu instid0(VALU_DEP_1) | instskip(SKIP_1) | instid1(VALU_DEP_2)
	v_add_co_ci_u32_e64 v24, s0, s2, v5, s0
	s_mov_b32 s2, 0x1ea71119
	v_add_co_u32 v8, s0, 0x1000, v23
	global_load_b128 v[4:7], v[23:24], off offset:3120
	v_add_co_ci_u32_e64 v9, s0, 0, v24, s0
	s_mov_b32 s3, 0x3fe22d96
	s_mov_b32 s7, 0x3fbedb7d
	s_mov_b32 s27, 0xbfefc445
	global_load_b128 v[11:14], v[8:9], off offset:2144
	ds_load_b128 v[0:3], v160 offset:3120
	ds_load_b128 v[15:18], v10 offset:28080
	v_add_co_u32 v8, s0, 0x2000, v23
	s_delay_alu instid0(VALU_DEP_1)
	v_add_co_ci_u32_e64 v9, s0, 0, v24, s0
	s_mov_b32 s20, 0x2ef20147
	s_mov_b32 s12, 0xb2365da1
	;; [unrolled: 1-line block ×3, first 2 shown]
	global_load_b128 v[19:22], v[8:9], off offset:1168
	s_mov_b32 s10, 0x93053d00
	s_mov_b32 s21, 0xbfedeba7
	;; [unrolled: 1-line block ×11, first 2 shown]
	s_waitcnt lgkmcnt(0)
	v_add_f64 v[8:9], v[0:1], v[15:16]
	v_add_f64 v[25:26], v[17:18], v[2:3]
	v_add_f64 v[15:16], v[0:1], -v[15:16]
	v_add_f64 v[0:1], v[2:3], -v[17:18]
	s_mov_b32 s15, 0xbfe7f3cc
	s_mov_b32 s17, 0x3fec55a7
	;; [unrolled: 1-line block ×8, first 2 shown]
	s_mov_b32 s33, exec_lo
	s_waitcnt vmcnt(2)
	s_delay_alu instid0(VALU_DEP_2) | instskip(NEXT) | instid1(VALU_DEP_2)
	v_fma_f64 v[2:3], v[15:16], v[6:7], v[8:9]
	v_fma_f64 v[17:18], v[25:26], v[6:7], v[0:1]
	v_fma_f64 v[8:9], -v[15:16], v[6:7], v[8:9]
	v_fma_f64 v[27:28], v[25:26], v[6:7], -v[0:1]
	s_delay_alu instid0(VALU_DEP_4) | instskip(NEXT) | instid1(VALU_DEP_4)
	v_fma_f64 v[0:1], -v[25:26], v[4:5], v[2:3]
	v_fma_f64 v[2:3], v[15:16], v[4:5], v[17:18]
	s_delay_alu instid0(VALU_DEP_4) | instskip(NEXT) | instid1(VALU_DEP_4)
	v_fma_f64 v[6:7], v[25:26], v[4:5], v[8:9]
	v_fma_f64 v[8:9], v[15:16], v[4:5], v[27:28]
	ds_store_b128 v160, v[0:3] offset:3120
	ds_store_b128 v10, v[6:9] offset:28080
	ds_load_b128 v[0:3], v160 offset:6240
	ds_load_b128 v[4:7], v10 offset:24960
	v_add_co_u32 v8, s0, 0x3000, v23
	s_delay_alu instid0(VALU_DEP_1)
	v_add_co_ci_u32_e64 v9, s0, 0, v24, s0
	global_load_b128 v[15:18], v[8:9], off offset:192
	s_waitcnt lgkmcnt(0)
	v_add_f64 v[8:9], v[0:1], v[4:5]
	v_add_f64 v[23:24], v[6:7], v[2:3]
	v_add_f64 v[25:26], v[0:1], -v[4:5]
	v_add_f64 v[0:1], v[2:3], -v[6:7]
	s_waitcnt vmcnt(2)
	s_delay_alu instid0(VALU_DEP_2) | instskip(NEXT) | instid1(VALU_DEP_2)
	v_fma_f64 v[2:3], v[25:26], v[13:14], v[8:9]
	v_fma_f64 v[4:5], v[23:24], v[13:14], v[0:1]
	v_fma_f64 v[6:7], -v[25:26], v[13:14], v[8:9]
	v_fma_f64 v[8:9], v[23:24], v[13:14], -v[0:1]
	s_delay_alu instid0(VALU_DEP_4) | instskip(NEXT) | instid1(VALU_DEP_4)
	v_fma_f64 v[0:1], -v[23:24], v[11:12], v[2:3]
	v_fma_f64 v[2:3], v[25:26], v[11:12], v[4:5]
	s_delay_alu instid0(VALU_DEP_4) | instskip(NEXT) | instid1(VALU_DEP_4)
	v_fma_f64 v[4:5], v[23:24], v[11:12], v[6:7]
	v_fma_f64 v[6:7], v[25:26], v[11:12], v[8:9]
	ds_store_b128 v160, v[0:3] offset:6240
	ds_store_b128 v10, v[4:7] offset:24960
	ds_load_b128 v[0:3], v160 offset:9360
	ds_load_b128 v[4:7], v10 offset:21840
	s_waitcnt lgkmcnt(0)
	v_add_f64 v[8:9], v[0:1], v[4:5]
	v_add_f64 v[11:12], v[6:7], v[2:3]
	v_add_f64 v[13:14], v[0:1], -v[4:5]
	v_add_f64 v[0:1], v[2:3], -v[6:7]
	s_waitcnt vmcnt(1)
	s_delay_alu instid0(VALU_DEP_2) | instskip(NEXT) | instid1(VALU_DEP_2)
	v_fma_f64 v[2:3], v[13:14], v[21:22], v[8:9]
	v_fma_f64 v[4:5], v[11:12], v[21:22], v[0:1]
	v_fma_f64 v[6:7], -v[13:14], v[21:22], v[8:9]
	v_fma_f64 v[8:9], v[11:12], v[21:22], -v[0:1]
	s_delay_alu instid0(VALU_DEP_4) | instskip(NEXT) | instid1(VALU_DEP_4)
	v_fma_f64 v[0:1], -v[11:12], v[19:20], v[2:3]
	v_fma_f64 v[2:3], v[13:14], v[19:20], v[4:5]
	s_delay_alu instid0(VALU_DEP_4) | instskip(NEXT) | instid1(VALU_DEP_4)
	v_fma_f64 v[4:5], v[11:12], v[19:20], v[6:7]
	v_fma_f64 v[6:7], v[13:14], v[19:20], v[8:9]
	ds_store_b128 v160, v[0:3] offset:9360
	ds_store_b128 v10, v[4:7] offset:21840
	ds_load_b128 v[0:3], v160 offset:12480
	ds_load_b128 v[4:7], v10 offset:18720
	s_waitcnt lgkmcnt(0)
	v_add_f64 v[8:9], v[0:1], v[4:5]
	v_add_f64 v[11:12], v[6:7], v[2:3]
	v_add_f64 v[13:14], v[0:1], -v[4:5]
	v_add_f64 v[0:1], v[2:3], -v[6:7]
	s_waitcnt vmcnt(0)
	s_delay_alu instid0(VALU_DEP_2) | instskip(NEXT) | instid1(VALU_DEP_2)
	v_fma_f64 v[2:3], v[13:14], v[17:18], v[8:9]
	v_fma_f64 v[4:5], v[11:12], v[17:18], v[0:1]
	v_fma_f64 v[6:7], -v[13:14], v[17:18], v[8:9]
	v_fma_f64 v[8:9], v[11:12], v[17:18], -v[0:1]
	s_delay_alu instid0(VALU_DEP_4) | instskip(NEXT) | instid1(VALU_DEP_4)
	v_fma_f64 v[0:1], -v[11:12], v[15:16], v[2:3]
	v_fma_f64 v[2:3], v[13:14], v[15:16], v[4:5]
	s_delay_alu instid0(VALU_DEP_4) | instskip(NEXT) | instid1(VALU_DEP_4)
	v_fma_f64 v[4:5], v[11:12], v[15:16], v[6:7]
	v_fma_f64 v[6:7], v[13:14], v[15:16], v[8:9]
	ds_store_b128 v160, v[0:3] offset:12480
	ds_store_b128 v10, v[4:7] offset:18720
	s_waitcnt lgkmcnt(0)
	s_barrier
	buffer_gl0_inv
	s_barrier
	buffer_gl0_inv
	ds_load_b128 v[8:11], v160 offset:28800
	ds_load_b128 v[44:47], v160 offset:2400
	ds_load_b128 v[20:23], v160
	ds_load_b128 v[12:15], v160 offset:26400
	ds_load_b128 v[48:51], v160 offset:4800
	;; [unrolled: 1-line block ×8, first 2 shown]
	s_waitcnt lgkmcnt(9)
	v_add_f64 v[78:79], v[46:47], -v[10:11]
	v_add_f64 v[64:65], v[46:47], v[10:11]
	s_waitcnt lgkmcnt(6)
	v_add_f64 v[152:153], v[50:51], -v[14:15]
	v_add_f64 v[88:89], v[50:51], v[14:15]
	v_add_f64 v[90:91], v[44:45], v[8:9]
	v_add_f64 v[100:101], v[44:45], -v[8:9]
	s_waitcnt lgkmcnt(4)
	v_add_f64 v[154:155], v[58:59], -v[18:19]
	v_add_f64 v[110:111], v[58:59], v[18:19]
	v_add_f64 v[94:95], v[48:49], v[12:13]
	v_add_f64 v[156:157], v[48:49], -v[12:13]
	v_add_f64 v[106:107], v[56:57], v[16:17]
	v_add_f64 v[158:159], v[56:57], -v[16:17]
	s_waitcnt lgkmcnt(2)
	v_add_f64 v[92:93], v[54:55], -v[26:27]
	v_add_f64 v[80:81], v[54:55], v[26:27]
	v_add_f64 v[86:87], v[52:53], v[24:25]
	v_add_f64 v[98:99], v[52:53], -v[24:25]
	s_waitcnt lgkmcnt(0)
	v_add_f64 v[96:97], v[38:39], -v[30:31]
	v_add_f64 v[68:69], v[38:39], v[30:31]
	v_add_f64 v[82:83], v[36:37], v[28:29]
	v_add_f64 v[104:105], v[36:37], -v[28:29]
	v_mul_f64 v[114:115], v[78:79], s[22:23]
	v_mul_f64 v[118:119], v[64:65], s[2:3]
	v_mul_f64 v[140:141], v[78:79], s[26:27]
	v_mul_f64 v[144:145], v[64:65], s[6:7]
	v_mul_f64 v[112:113], v[152:153], s[20:21]
	v_mul_f64 v[116:117], v[88:89], s[12:13]
	v_mul_f64 v[120:121], v[152:153], s[18:19]
	v_mul_f64 v[126:127], v[88:89], s[10:11]
	v_mul_f64 v[122:123], v[154:155], s[18:19]
	v_mul_f64 v[124:125], v[110:111], s[10:11]
	v_mul_f64 v[128:129], v[154:155], s[36:37]
	v_mul_f64 v[132:133], v[110:111], s[12:13]
	v_mul_f64 v[130:131], v[92:93], s[34:35]
	v_mul_f64 v[134:135], v[80:81], s[14:15]
	v_mul_f64 v[136:137], v[92:93], s[30:31]
	v_mul_f64 v[148:149], v[80:81], s[16:17]
	v_mul_f64 v[138:139], v[96:97], s[28:29]
	v_mul_f64 v[142:143], v[68:69], s[6:7]
	v_mul_f64 v[146:147], v[96:97], s[22:23]
	v_mul_f64 v[150:151], v[68:69], s[2:3]
	v_fma_f64 v[0:1], v[90:91], s[2:3], -v[114:115]
	v_fma_f64 v[2:3], v[100:101], s[22:23], v[118:119]
	v_fma_f64 v[4:5], v[90:91], s[6:7], -v[140:141]
	v_fma_f64 v[6:7], v[100:101], s[26:27], v[144:145]
	;; [unrolled: 2-line block ×10, first 2 shown]
	v_add_f64 v[0:1], v[20:21], v[0:1]
	v_add_f64 v[2:3], v[22:23], v[2:3]
	;; [unrolled: 1-line block ×4, first 2 shown]
	s_delay_alu instid0(VALU_DEP_4) | instskip(NEXT) | instid1(VALU_DEP_4)
	v_add_f64 v[0:1], v[32:33], v[0:1]
	v_add_f64 v[2:3], v[34:35], v[2:3]
	s_delay_alu instid0(VALU_DEP_4) | instskip(NEXT) | instid1(VALU_DEP_4)
	v_add_f64 v[4:5], v[40:41], v[4:5]
	v_add_f64 v[6:7], v[42:43], v[6:7]
	ds_load_b128 v[40:43], v160 offset:14400
	ds_load_b128 v[32:35], v160 offset:16800
	s_waitcnt lgkmcnt(0)
	s_barrier
	buffer_gl0_inv
	v_add_f64 v[102:103], v[42:43], -v[34:35]
	v_add_f64 v[66:67], v[42:43], v[34:35]
	v_add_f64 v[108:109], v[40:41], -v[32:33]
	v_add_f64 v[0:1], v[70:71], v[0:1]
	v_add_f64 v[2:3], v[72:73], v[2:3]
	;; [unrolled: 1-line block ×5, first 2 shown]
	v_mul_f64 v[72:73], v[102:103], s[30:31]
	v_mul_f64 v[74:75], v[66:67], s[16:17]
	;; [unrolled: 1-line block ×4, first 2 shown]
	v_add_f64 v[0:1], v[161:162], v[0:1]
	v_add_f64 v[2:3], v[163:164], v[2:3]
	;; [unrolled: 1-line block ×4, first 2 shown]
	v_fma_f64 v[161:162], v[70:71], s[16:17], -v[72:73]
	v_fma_f64 v[163:164], v[108:109], s[30:31], v[74:75]
	v_fma_f64 v[165:166], v[70:71], s[14:15], -v[76:77]
	v_fma_f64 v[167:168], v[108:109], s[24:25], v[84:85]
	v_add_f64 v[0:1], v[169:170], v[0:1]
	v_add_f64 v[2:3], v[171:172], v[2:3]
	;; [unrolled: 1-line block ×4, first 2 shown]
	s_delay_alu instid0(VALU_DEP_4) | instskip(NEXT) | instid1(VALU_DEP_4)
	v_add_f64 v[4:5], v[161:162], v[0:1]
	v_add_f64 v[6:7], v[163:164], v[2:3]
	s_delay_alu instid0(VALU_DEP_4) | instskip(NEXT) | instid1(VALU_DEP_4)
	v_add_f64 v[0:1], v[165:166], v[169:170]
	v_add_f64 v[2:3], v[167:168], v[171:172]
	v_cmpx_gt_u32_e32 0x96, v60
	s_cbranch_execz .LBB0_19
; %bb.18:
	v_add_f64 v[44:45], v[20:21], v[44:45]
	v_add_f64 v[46:47], v[22:23], v[46:47]
	v_mul_f64 v[163:164], v[100:101], s[22:23]
	v_mul_f64 v[165:166], v[98:99], s[30:31]
	v_mul_f64 v[167:168], v[100:101], s[18:19]
	v_mul_f64 v[171:172], v[152:153], s[30:31]
	v_mul_f64 v[173:174], v[104:105], s[30:31]
	v_mul_f64 v[175:176], v[100:101], s[24:25]
	v_mul_f64 v[177:178], v[96:97], s[30:31]
	v_mul_f64 v[179:180], v[158:159], s[30:31]
	v_mul_f64 v[181:182], v[100:101], s[20:21]
	v_mul_f64 v[183:184], v[158:159], s[36:37]
	v_mul_f64 v[185:186], v[154:155], s[30:31]
	v_mul_f64 v[187:188], v[156:157], s[18:19]
	v_mul_f64 v[189:190], v[78:79], s[18:19]
	v_mul_f64 v[191:192], v[82:83], s[2:3]
	v_mul_f64 v[193:194], v[78:79], s[24:25]
	v_mul_f64 v[201:202], v[94:95], s[10:11]
	v_mul_f64 v[161:162], v[90:91], s[6:7]
	v_mul_f64 v[195:196], v[78:79], s[20:21]
	v_mul_f64 v[197:198], v[86:87], s[16:17]
	v_mul_f64 v[217:218], v[94:95], s[12:13]
	v_mul_f64 v[199:200], v[106:107], s[12:13]
	v_mul_f64 v[219:220], v[158:159], s[24:25]
	v_mul_f64 v[203:204], v[104:105], s[28:29]
	v_mul_f64 v[205:206], v[98:99], s[34:35]
	v_mul_f64 v[207:208], v[158:159], s[18:19]
	v_mul_f64 v[209:210], v[156:157], s[20:21]
	v_mul_f64 v[211:212], v[82:83], s[6:7]
	v_mul_f64 v[213:214], v[86:87], s[14:15]
	v_mul_f64 v[221:222], v[158:159], s[22:23]
	v_mul_f64 v[158:159], v[158:159], s[26:27]
	v_mul_f64 v[223:224], v[156:157], s[28:29]
	v_mul_f64 v[225:226], v[156:157], s[34:35]
	v_mul_f64 v[227:228], v[154:155], s[24:25]
	v_mul_f64 v[229:230], v[152:153], s[34:35]
	v_mul_f64 v[215:216], v[106:107], s[10:11]
	v_mul_f64 v[169:170], v[104:105], s[22:23]
	v_add_f64 v[48:49], v[44:45], v[48:49]
	v_add_f64 v[46:47], v[46:47], v[50:51]
	v_mul_f64 v[44:45], v[108:109], s[30:31]
	v_mul_f64 v[50:51], v[100:101], s[26:27]
	v_add_f64 v[118:119], v[118:119], -v[163:164]
	s_mov_b32 s1, 0x3fcea1e5
	s_mov_b32 s0, s18
	v_mul_f64 v[231:232], v[98:99], s[26:27]
	v_mul_f64 v[233:234], v[98:99], s[20:21]
	;; [unrolled: 1-line block ×4, first 2 shown]
	v_add_f64 v[132:133], v[132:133], -v[183:184]
	v_fma_f64 v[183:184], v[64:65], s[10:11], v[167:168]
	v_add_f64 v[126:127], v[126:127], -v[187:188]
	v_fma_f64 v[167:168], v[64:65], s[10:11], -v[167:168]
	v_add_f64 v[146:147], v[191:192], v[146:147]
	v_fma_f64 v[187:188], v[64:65], s[14:15], v[175:176]
	v_fma_f64 v[175:176], v[64:65], s[14:15], -v[175:176]
	v_fma_f64 v[191:192], v[64:65], s[12:13], v[181:182]
	v_add_f64 v[140:141], v[161:162], v[140:141]
	v_add_f64 v[136:137], v[197:198], v[136:137]
	v_fma_f64 v[197:198], v[90:91], s[12:13], -v[195:196]
	v_fma_f64 v[195:196], v[90:91], s[12:13], v[195:196]
	v_add_f64 v[112:113], v[217:218], v[112:113]
	v_add_f64 v[128:129], v[199:200], v[128:129]
	v_fma_f64 v[199:200], v[110:111], s[14:15], v[219:220]
	v_add_f64 v[142:143], v[142:143], -v[203:204]
	v_add_f64 v[134:135], v[134:135], -v[205:206]
	;; [unrolled: 1-line block ×4, first 2 shown]
	v_add_f64 v[138:139], v[211:212], v[138:139]
	v_add_f64 v[130:131], v[213:214], v[130:131]
	v_fma_f64 v[203:204], v[110:111], s[2:3], v[221:222]
	v_fma_f64 v[205:206], v[110:111], s[2:3], -v[221:222]
	v_fma_f64 v[207:208], v[110:111], s[16:17], v[179:180]
	v_fma_f64 v[179:180], v[110:111], s[16:17], -v[179:180]
	v_fma_f64 v[209:210], v[110:111], s[6:7], v[158:159]
	v_fma_f64 v[211:212], v[88:89], s[6:7], v[223:224]
	v_add_f64 v[48:49], v[48:49], v[56:57]
	v_add_f64 v[46:47], v[46:47], v[58:59]
	v_mul_f64 v[56:57], v[90:91], s[2:3]
	v_mul_f64 v[58:59], v[156:157], s[30:31]
	s_mov_b32 s31, 0xbfddbe06
	v_add_f64 v[50:51], v[144:145], -v[50:51]
	v_mul_f64 v[100:101], v[100:101], s[30:31]
	v_mul_f64 v[78:79], v[78:79], s[30:31]
	;; [unrolled: 1-line block ×3, first 2 shown]
	v_fma_f64 v[213:214], v[88:89], s[6:7], -v[223:224]
	v_fma_f64 v[221:222], v[94:95], s[16:17], -v[171:172]
	v_fma_f64 v[171:172], v[94:95], s[16:17], v[171:172]
	v_add_f64 v[183:184], v[22:23], v[183:184]
	v_add_f64 v[118:119], v[22:23], v[118:119]
	;; [unrolled: 1-line block ×8, first 2 shown]
	v_fma_f64 v[215:216], v[88:89], s[14:15], v[225:226]
	v_add_f64 v[197:198], v[20:21], v[197:198]
	v_add_f64 v[195:196], v[20:21], v[195:196]
	v_mul_f64 v[144:145], v[92:93], s[20:21]
	v_mul_f64 v[161:162], v[104:105], s[20:21]
	v_fma_f64 v[223:224], v[106:107], s[16:17], -v[185:186]
	v_fma_f64 v[185:186], v[106:107], s[16:17], v[185:186]
	v_add_f64 v[150:151], v[150:151], -v[169:170]
	v_mul_f64 v[169:170], v[96:97], s[24:25]
	v_add_f64 v[148:149], v[148:149], -v[165:166]
	v_mul_f64 v[165:166], v[108:109], s[28:29]
	v_mul_f64 v[104:105], v[104:105], s[0:1]
	v_add_f64 v[44:45], v[74:75], -v[44:45]
	v_add_f64 v[48:49], v[48:49], v[52:53]
	v_add_f64 v[46:47], v[46:47], v[54:55]
	v_mul_f64 v[52:53], v[154:155], s[22:23]
	v_mul_f64 v[54:55], v[154:155], s[26:27]
	;; [unrolled: 1-line block ×3, first 2 shown]
	v_add_f64 v[56:57], v[56:57], v[114:115]
	v_fma_f64 v[217:218], v[64:65], s[16:17], v[100:101]
	v_mul_f64 v[152:153], v[152:153], s[22:23]
	v_add_f64 v[50:51], v[22:23], v[50:51]
	s_mov_b32 s23, 0x3fea55e2
	v_mul_f64 v[114:115], v[96:97], s[20:21]
	v_mul_f64 v[96:97], v[96:97], s[0:1]
	v_add_f64 v[187:188], v[211:212], v[187:188]
	v_add_f64 v[175:176], v[213:214], v[175:176]
	v_fma_f64 v[213:214], v[80:81], s[6:7], v[231:232]
	v_fma_f64 v[231:232], v[80:81], s[6:7], -v[231:232]
	v_mul_f64 v[211:212], v[102:103], s[18:19]
	v_add_f64 v[36:37], v[48:49], v[36:37]
	v_add_f64 v[38:39], v[46:47], v[38:39]
	v_fma_f64 v[46:47], v[64:65], s[12:13], -v[181:182]
	v_add_f64 v[48:49], v[201:202], v[120:121]
	v_fma_f64 v[120:121], v[90:91], s[10:11], -v[189:190]
	v_fma_f64 v[181:182], v[90:91], s[10:11], v[189:190]
	v_fma_f64 v[189:190], v[90:91], s[14:15], -v[193:194]
	v_fma_f64 v[193:194], v[90:91], s[14:15], v[193:194]
	v_fma_f64 v[64:65], v[64:65], s[16:17], -v[100:101]
	v_fma_f64 v[201:202], v[110:111], s[14:15], -v[219:220]
	;; [unrolled: 1-line block ×3, first 2 shown]
	v_fma_f64 v[78:79], v[90:91], s[16:17], v[78:79]
	v_fma_f64 v[110:111], v[110:111], s[6:7], -v[158:159]
	v_fma_f64 v[158:159], v[88:89], s[16:17], v[58:59]
	v_fma_f64 v[58:59], v[88:89], s[16:17], -v[58:59]
	v_fma_f64 v[90:91], v[88:89], s[14:15], -v[225:226]
	v_add_f64 v[56:57], v[20:21], v[56:57]
	v_add_f64 v[217:218], v[22:23], v[217:218]
	v_fma_f64 v[100:101], v[88:89], s[2:3], v[156:157]
	v_fma_f64 v[88:89], v[88:89], s[2:3], -v[156:157]
	v_fma_f64 v[156:157], v[106:107], s[2:3], -v[52:53]
	v_fma_f64 v[52:53], v[106:107], s[2:3], v[52:53]
	v_add_f64 v[50:51], v[126:127], v[50:51]
	v_fma_f64 v[225:226], v[106:107], s[6:7], -v[54:55]
	v_fma_f64 v[54:55], v[106:107], s[6:7], v[54:55]
	v_fma_f64 v[126:127], v[68:69], s[12:13], -v[161:162]
	v_add_f64 v[36:37], v[36:37], v[40:41]
	v_add_f64 v[38:39], v[38:39], v[42:43]
	v_fma_f64 v[40:41], v[106:107], s[14:15], -v[227:228]
	v_fma_f64 v[42:43], v[106:107], s[14:15], v[227:228]
	v_add_f64 v[120:121], v[20:21], v[120:121]
	v_add_f64 v[181:182], v[20:21], v[181:182]
	v_fma_f64 v[227:228], v[94:95], s[6:7], -v[154:155]
	v_add_f64 v[189:190], v[20:21], v[189:190]
	v_fma_f64 v[154:155], v[94:95], s[6:7], v[154:155]
	v_add_f64 v[193:194], v[20:21], v[193:194]
	v_add_f64 v[46:47], v[22:23], v[46:47]
	;; [unrolled: 1-line block ×3, first 2 shown]
	v_fma_f64 v[64:65], v[94:95], s[14:15], v[229:230]
	v_fma_f64 v[229:230], v[94:95], s[14:15], -v[229:230]
	v_add_f64 v[219:220], v[20:21], v[219:220]
	v_add_f64 v[20:21], v[20:21], v[78:79]
	;; [unrolled: 1-line block ×8, first 2 shown]
	v_fma_f64 v[140:141], v[68:69], s[16:17], v[173:174]
	v_add_f64 v[50:51], v[132:133], v[50:51]
	v_mul_f64 v[78:79], v[70:71], s[16:17]
	v_fma_f64 v[132:133], v[66:67], s[6:7], v[165:166]
	v_mul_f64 v[183:184], v[108:109], s[24:25]
	v_mul_f64 v[106:107], v[102:103], s[28:29]
	;; [unrolled: 1-line block ×3, first 2 shown]
	v_add_f64 v[32:33], v[36:37], v[32:33]
	v_fma_f64 v[36:37], v[94:95], s[2:3], v[152:153]
	v_add_f64 v[34:35], v[38:39], v[34:35]
	v_fma_f64 v[94:95], v[94:95], s[2:3], -v[152:153]
	v_add_f64 v[120:121], v[221:222], v[120:121]
	v_add_f64 v[171:172], v[171:172], v[181:182]
	v_mul_f64 v[181:182], v[98:99], s[22:23]
	v_mul_f64 v[98:99], v[98:99], s[0:1]
	v_add_f64 v[189:190], v[227:228], v[189:190]
	v_mul_f64 v[227:228], v[92:93], s[22:23]
	v_mul_f64 v[92:93], v[92:93], s[0:1]
	v_add_f64 v[154:155], v[154:155], v[193:194]
	v_add_f64 v[46:47], v[90:91], v[46:47]
	;; [unrolled: 1-line block ×6, first 2 shown]
	v_fma_f64 v[193:194], v[80:81], s[12:13], v[233:234]
	v_fma_f64 v[233:234], v[80:81], s[12:13], -v[233:234]
	v_fma_f64 v[88:89], v[86:87], s[12:13], -v[144:145]
	v_fma_f64 v[118:119], v[68:69], s[12:13], v[161:162]
	v_add_f64 v[58:59], v[201:202], v[58:59]
	v_add_f64 v[56:57], v[122:123], v[56:57]
	;; [unrolled: 1-line block ×5, first 2 shown]
	v_mul_f64 v[38:39], v[108:109], s[20:21]
	v_fma_f64 v[122:123], v[82:83], s[16:17], v[177:178]
	v_fma_f64 v[128:129], v[82:83], s[14:15], v[169:170]
	v_mul_f64 v[221:222], v[70:71], s[14:15]
	v_add_f64 v[50:51], v[148:149], v[50:51]
	v_mul_f64 v[152:153], v[102:103], s[20:21]
	v_mul_f64 v[108:109], v[108:109], s[22:23]
	;; [unrolled: 1-line block ×3, first 2 shown]
	v_add_f64 v[72:73], v[78:79], v[72:73]
	v_add_f64 v[84:85], v[84:85], -v[183:184]
	v_fma_f64 v[74:75], v[66:67], s[10:11], v[167:168]
	v_fma_f64 v[78:79], v[70:71], s[10:11], -v[211:212]
	v_add_f64 v[28:29], v[32:33], v[28:29]
	v_add_f64 v[20:21], v[36:37], v[20:21]
	;; [unrolled: 1-line block ×4, first 2 shown]
	v_fma_f64 v[34:35], v[86:87], s[6:7], -v[235:236]
	v_fma_f64 v[36:37], v[86:87], s[6:7], v[235:236]
	v_fma_f64 v[94:95], v[86:87], s[12:13], v[144:145]
	v_fma_f64 v[144:145], v[68:69], s[16:17], -v[173:174]
	v_fma_f64 v[161:162], v[80:81], s[2:3], v[181:182]
	v_fma_f64 v[173:174], v[80:81], s[2:3], -v[181:182]
	v_fma_f64 v[181:182], v[80:81], s[10:11], v[98:99]
	v_fma_f64 v[80:81], v[80:81], s[10:11], -v[98:99]
	v_fma_f64 v[98:99], v[86:87], s[2:3], -v[227:228]
	v_fma_f64 v[191:192], v[86:87], s[2:3], v[227:228]
	v_fma_f64 v[195:196], v[86:87], s[10:11], -v[92:93]
	v_fma_f64 v[86:87], v[86:87], s[10:11], v[92:93]
	v_add_f64 v[92:93], v[199:200], v[158:159]
	v_add_f64 v[40:41], v[40:41], v[120:121]
	;; [unrolled: 1-line block ×12, first 2 shown]
	v_fma_f64 v[110:111], v[82:83], s[12:13], v[114:115]
	v_fma_f64 v[124:125], v[82:83], s[14:15], -v[169:170]
	v_add_f64 v[56:57], v[130:131], v[56:57]
	v_add_f64 v[48:49], v[136:137], v[48:49]
	;; [unrolled: 1-line block ×4, first 2 shown]
	v_fma_f64 v[154:155], v[70:71], s[6:7], -v[106:107]
	v_fma_f64 v[106:107], v[70:71], s[6:7], v[106:107]
	v_add_f64 v[24:25], v[28:29], v[24:25]
	v_add_f64 v[20:21], v[54:55], v[20:21]
	v_add_f64 v[26:27], v[30:31], v[26:27]
	v_add_f64 v[28:29], v[225:226], v[32:33]
	v_fma_f64 v[30:31], v[68:69], s[14:15], v[163:164]
	v_fma_f64 v[32:33], v[68:69], s[14:15], -v[163:164]
	v_fma_f64 v[54:55], v[82:83], s[12:13], -v[114:115]
	v_fma_f64 v[114:115], v[82:83], s[16:17], -v[177:178]
	v_fma_f64 v[163:164], v[66:67], s[6:7], -v[165:166]
	v_fma_f64 v[165:166], v[68:69], s[10:11], v[104:105]
	v_fma_f64 v[68:69], v[68:69], s[10:11], -v[104:105]
	v_fma_f64 v[104:105], v[82:83], s[10:11], -v[96:97]
	v_fma_f64 v[82:83], v[82:83], s[10:11], v[96:97]
	v_add_f64 v[58:59], v[173:174], v[58:59]
	v_add_f64 v[92:93], v[161:162], v[92:93]
	;; [unrolled: 1-line block ×17, first 2 shown]
	v_fma_f64 v[100:101], v[70:71], s[10:11], v[211:212]
	v_fma_f64 v[112:113], v[66:67], s[2:3], v[108:109]
	v_fma_f64 v[116:117], v[70:71], s[2:3], -v[102:103]
	v_add_f64 v[16:17], v[24:25], v[16:17]
	v_add_f64 v[20:21], v[94:95], v[20:21]
	;; [unrolled: 1-line block ×4, first 2 shown]
	v_fma_f64 v[26:27], v[66:67], s[12:13], v[38:39]
	v_fma_f64 v[38:39], v[66:67], s[12:13], -v[38:39]
	v_fma_f64 v[28:29], v[70:71], s[12:13], -v[152:153]
	v_fma_f64 v[88:89], v[70:71], s[12:13], v[152:153]
	v_fma_f64 v[94:95], v[66:67], s[10:11], -v[167:168]
	v_fma_f64 v[66:67], v[66:67], s[2:3], -v[108:109]
	v_fma_f64 v[70:71], v[70:71], s[2:3], v[102:103]
	v_add_f64 v[92:93], v[118:119], v[92:93]
	v_add_f64 v[40:41], v[54:55], v[40:41]
	;; [unrolled: 1-line block ×37, first 2 shown]
	v_mad_u32_u24 v52, 0xc0, v60, v160
	v_add_f64 v[8:9], v[108:109], v[8:9]
	v_add_f64 v[48:49], v[100:101], v[102:103]
	;; [unrolled: 1-line block ×4, first 2 shown]
	ds_store_b128 v52, v[0:3] offset:160
	ds_store_b128 v52, v[4:7] offset:176
	ds_store_b128 v52, v[36:39] offset:32
	ds_store_b128 v52, v[32:35] offset:48
	ds_store_b128 v52, v[28:31] offset:64
	ds_store_b128 v52, v[24:27] offset:80
	ds_store_b128 v52, v[16:19] offset:96
	ds_store_b128 v52, v[12:15] offset:112
	ds_store_b128 v52, v[20:23] offset:128
	ds_store_b128 v52, v[40:43] offset:144
	ds_store_b128 v52, v[48:51] offset:16
	ds_store_b128 v52, v[8:11]
	ds_store_b128 v52, v[44:47] offset:192
.LBB0_19:
	s_or_b32 exec_lo, exec_lo, s33
	v_and_b32_e32 v8, 0xff, v60
	v_add_nc_u32_e32 v50, 0xc3, v60
	s_waitcnt lgkmcnt(0)
	s_barrier
	buffer_gl0_inv
	v_mul_lo_u16 v9, 0x4f, v8
	v_and_b32_e32 v11, 0xffff, v50
	s_mov_b32 s2, 0x134454ff
	s_mov_b32 s3, 0xbfee6f0e
	s_mov_b32 s1, 0x3fee6f0e
	v_lshrrev_b16 v10, 10, v9
	v_mul_u32_u24_e32 v9, 0x4ec5, v11
	s_mov_b32 s0, s2
	s_mov_b32 s10, 0x4755a5e
	;; [unrolled: 1-line block ×3, first 2 shown]
	v_mul_lo_u16 v11, v10, 13
	v_lshrrev_b32_e32 v9, 18, v9
	s_mov_b32 s7, 0x3fe2cf23
	s_mov_b32 s6, s10
	;; [unrolled: 1-line block ×3, first 2 shown]
	v_sub_nc_u16 v11, v60, v11
	v_mul_lo_u16 v12, v9, 13
	s_mov_b32 s13, 0x3fd3c6ef
	v_mul_lo_u16 v8, 0xfd, v8
	v_and_b32_e32 v10, 0xffff, v10
	v_and_b32_e32 v11, 0xff, v11
	v_sub_nc_u16 v12, v50, v12
	v_mul_u32_u24_e32 v9, 0x410, v9
	s_mov_b32 s14, 0x9b97f4a8
	s_mov_b32 s15, 0x3fe9e377
	v_lshlrev_b32_e32 v26, 6, v11
	v_and_b32_e32 v13, 0xffff, v12
	s_mov_b32 s17, 0xbfd3c6ef
	s_mov_b32 s16, s12
	;; [unrolled: 1-line block ×3, first 2 shown]
	s_clause 0x2
	global_load_b128 v[14:17], v26, s[4:5]
	global_load_b128 v[18:21], v26, s[4:5] offset:16
	global_load_b128 v[22:25], v26, s[4:5] offset:32
	v_lshlrev_b32_e32 v12, 6, v13
	s_mov_b32 s18, s14
	s_clause 0x4
	global_load_b128 v[26:29], v26, s[4:5] offset:48
	global_load_b128 v[30:33], v12, s[4:5]
	global_load_b128 v[34:37], v12, s[4:5] offset:16
	global_load_b128 v[38:41], v12, s[4:5] offset:32
	;; [unrolled: 1-line block ×3, first 2 shown]
	ds_load_b128 v[46:49], v160 offset:6240
	ds_load_b128 v[51:54], v160 offset:12480
	;; [unrolled: 1-line block ×8, first 2 shown]
	v_lshrrev_b16 v12, 14, v8
	s_delay_alu instid0(VALU_DEP_1) | instskip(SKIP_1) | instid1(VALU_DEP_2)
	v_mul_lo_u16 v8, 0x41, v12
	v_and_b32_e32 v12, 0xffff, v12
	v_sub_nc_u16 v8, v60, v8
	s_delay_alu instid0(VALU_DEP_2)
	v_mul_u32_u24_e32 v12, 0x28a0, v12
	s_waitcnt vmcnt(7) lgkmcnt(7)
	v_mul_f64 v[84:85], v[48:49], v[16:17]
	s_waitcnt vmcnt(6) lgkmcnt(6)
	v_mul_f64 v[86:87], v[53:54], v[20:21]
	;; [unrolled: 2-line block ×3, first 2 shown]
	v_mul_f64 v[20:21], v[51:52], v[20:21]
	v_mul_f64 v[24:25], v[55:56], v[24:25]
	;; [unrolled: 1-line block ×3, first 2 shown]
	s_waitcnt vmcnt(4) lgkmcnt(4)
	v_mul_f64 v[90:91], v[66:67], v[28:29]
	v_mul_f64 v[28:29], v[64:65], v[28:29]
	s_waitcnt vmcnt(2) lgkmcnt(2)
	v_mul_f64 v[94:95], v[74:75], v[36:37]
	s_waitcnt vmcnt(1) lgkmcnt(1)
	v_mul_f64 v[96:97], v[78:79], v[40:41]
	v_mul_f64 v[36:37], v[72:73], v[36:37]
	;; [unrolled: 1-line block ×4, first 2 shown]
	s_waitcnt vmcnt(0) lgkmcnt(0)
	v_mul_f64 v[98:99], v[82:83], v[44:45]
	v_mul_f64 v[32:33], v[68:69], v[32:33]
	v_mul_f64 v[44:45], v[80:81], v[44:45]
	v_fma_f64 v[46:47], v[46:47], v[14:15], v[84:85]
	v_fma_f64 v[51:52], v[51:52], v[18:19], v[86:87]
	;; [unrolled: 1-line block ×3, first 2 shown]
	v_fma_f64 v[53:54], v[53:54], v[18:19], -v[20:21]
	v_fma_f64 v[22:23], v[57:58], v[22:23], -v[24:25]
	;; [unrolled: 1-line block ×3, first 2 shown]
	v_fma_f64 v[64:65], v[64:65], v[26:27], v[90:91]
	v_fma_f64 v[24:25], v[66:67], v[26:27], -v[28:29]
	v_fma_f64 v[28:29], v[72:73], v[34:35], v[94:95]
	v_fma_f64 v[57:58], v[76:77], v[38:39], v[96:97]
	v_fma_f64 v[34:35], v[74:75], v[34:35], -v[36:37]
	v_fma_f64 v[38:39], v[78:79], v[38:39], -v[40:41]
	v_fma_f64 v[26:27], v[68:69], v[30:31], v[92:93]
	v_fma_f64 v[36:37], v[80:81], v[42:43], v[98:99]
	v_fma_f64 v[30:31], v[70:71], v[30:31], -v[32:33]
	v_fma_f64 v[32:33], v[82:83], v[42:43], -v[44:45]
	ds_load_b128 v[14:17], v160
	ds_load_b128 v[18:21], v160 offset:3120
	s_waitcnt lgkmcnt(0)
	s_barrier
	buffer_gl0_inv
	v_add_f64 v[76:77], v[14:15], v[46:47]
	v_add_f64 v[40:41], v[51:52], v[55:56]
	;; [unrolled: 1-line block ×6, first 2 shown]
	v_add_f64 v[78:79], v[48:49], -v[24:25]
	v_add_f64 v[68:69], v[28:29], v[57:58]
	v_add_f64 v[88:89], v[46:47], -v[64:65]
	v_add_f64 v[72:73], v[34:35], v[38:39]
	v_add_f64 v[84:85], v[18:19], v[26:27]
	;; [unrolled: 1-line block ×5, first 2 shown]
	v_add_f64 v[80:81], v[53:54], -v[22:23]
	v_add_f64 v[90:91], v[30:31], -v[32:33]
	;; [unrolled: 1-line block ×17, first 2 shown]
	v_fma_f64 v[40:41], v[40:41], -0.5, v[14:15]
	v_fma_f64 v[44:45], v[44:45], -0.5, v[16:17]
	v_add_f64 v[53:54], v[82:83], v[53:54]
	v_fma_f64 v[14:15], v[42:43], -0.5, v[14:15]
	v_add_f64 v[42:43], v[51:52], -v[55:56]
	v_fma_f64 v[16:17], v[66:67], -0.5, v[16:17]
	v_fma_f64 v[68:69], v[68:69], -0.5, v[18:19]
	v_add_f64 v[66:67], v[34:35], -v[38:39]
	v_fma_f64 v[72:73], v[72:73], -0.5, v[20:21]
	;; [unrolled: 3-line block ×3, first 2 shown]
	v_add_f64 v[74:75], v[46:47], -v[51:52]
	v_add_f64 v[46:47], v[51:52], -v[46:47]
	v_add_f64 v[51:52], v[76:77], v[51:52]
	v_add_f64 v[28:29], v[84:85], v[28:29]
	;; [unrolled: 1-line block ×5, first 2 shown]
	v_fma_f64 v[76:77], v[78:79], s[2:3], v[40:41]
	v_fma_f64 v[40:41], v[78:79], s[0:1], v[40:41]
	;; [unrolled: 1-line block ×16, first 2 shown]
	v_add_f64 v[74:75], v[74:75], v[94:95]
	v_add_f64 v[94:95], v[98:99], v[100:101]
	;; [unrolled: 1-line block ×10, first 2 shown]
	v_fma_f64 v[34:35], v[80:81], s[10:11], v[76:77]
	v_fma_f64 v[38:39], v[80:81], s[6:7], v[40:41]
	v_fma_f64 v[53:54], v[42:43], s[6:7], v[84:85]
	v_fma_f64 v[42:43], v[42:43], s[10:11], v[44:45]
	v_fma_f64 v[40:41], v[78:79], s[10:11], v[82:83]
	v_fma_f64 v[51:52], v[78:79], s[6:7], v[14:15]
	v_fma_f64 v[44:45], v[88:89], s[6:7], v[86:87]
	v_fma_f64 v[55:56], v[88:89], s[10:11], v[16:17]
	v_fma_f64 v[57:58], v[66:67], s[10:11], v[116:117]
	v_fma_f64 v[78:79], v[70:71], s[6:7], v[120:121]
	v_fma_f64 v[66:67], v[66:67], s[6:7], v[68:69]
	v_fma_f64 v[68:69], v[90:91], s[10:11], v[118:119]
	v_fma_f64 v[76:77], v[90:91], s[6:7], v[18:19]
	v_fma_f64 v[80:81], v[92:93], s[6:7], v[122:123]
	v_fma_f64 v[82:83], v[92:93], s[10:11], v[20:21]
	v_fma_f64 v[70:71], v[70:71], s[10:11], v[72:73]
	v_and_b32_e32 v14, 0xff, v8
	v_mul_u32_u24_e32 v8, 0x410, v10
	v_lshlrev_b32_e32 v10, 4, v11
	v_add_f64 v[15:16], v[26:27], v[64:65]
	v_add_f64 v[17:18], v[22:23], v[24:25]
	;; [unrolled: 1-line block ×3, first 2 shown]
	v_mul_u32_u24_e32 v11, 9, v14
	v_add_f64 v[19:20], v[28:29], v[36:37]
	v_add3_u32 v8, 0, v8, v10
	v_lshlrev_b32_e32 v10, 4, v13
	s_delay_alu instid0(VALU_DEP_4) | instskip(NEXT) | instid1(VALU_DEP_2)
	v_lshlrev_b32_e32 v13, 4, v11
	v_add3_u32 v9, 0, v9, v10
	v_fma_f64 v[23:24], v[74:75], s[12:13], v[34:35]
	v_fma_f64 v[27:28], v[74:75], s[12:13], v[38:39]
	v_fma_f64 v[25:26], v[94:95], s[12:13], v[53:54]
	v_fma_f64 v[29:30], v[94:95], s[12:13], v[42:43]
	v_fma_f64 v[31:32], v[46:47], s[12:13], v[40:41]
	v_fma_f64 v[35:36], v[46:47], s[12:13], v[51:52]
	v_fma_f64 v[33:34], v[48:49], s[12:13], v[44:45]
	v_fma_f64 v[37:38], v[48:49], s[12:13], v[55:56]
	v_fma_f64 v[39:40], v[96:97], s[12:13], v[57:58]
	v_fma_f64 v[41:42], v[100:101], s[12:13], v[78:79]
	v_fma_f64 v[43:44], v[96:97], s[12:13], v[66:67]
	v_fma_f64 v[51:52], v[98:99], s[12:13], v[68:69]
	v_fma_f64 v[55:56], v[98:99], s[12:13], v[76:77]
	v_fma_f64 v[53:54], v[102:103], s[12:13], v[80:81]
	v_fma_f64 v[57:58], v[102:103], s[12:13], v[82:83]
	v_fma_f64 v[45:46], v[100:101], s[12:13], v[70:71]
	ds_store_b128 v8, v[15:18]
	ds_store_b128 v8, v[23:26] offset:208
	ds_store_b128 v8, v[31:34] offset:416
	;; [unrolled: 1-line block ×4, first 2 shown]
	ds_store_b128 v9, v[19:22]
	ds_store_b128 v9, v[39:42] offset:208
	ds_store_b128 v9, v[51:54] offset:416
	;; [unrolled: 1-line block ×4, first 2 shown]
	s_waitcnt lgkmcnt(0)
	s_barrier
	buffer_gl0_inv
	s_clause 0x8
	global_load_b128 v[8:11], v13, s[4:5] offset:864
	global_load_b128 v[15:18], v13, s[4:5] offset:896
	;; [unrolled: 1-line block ×9, first 2 shown]
	ds_load_b128 v[51:54], v160 offset:9360
	ds_load_b128 v[55:58], v160 offset:15600
	;; [unrolled: 1-line block ×6, first 2 shown]
	v_lshlrev_b32_e32 v13, 4, v14
	s_delay_alu instid0(VALU_DEP_1)
	v_add3_u32 v12, 0, v12, v13
	s_waitcnt vmcnt(8) lgkmcnt(5)
	v_mul_f64 v[47:48], v[51:52], v[10:11]
	s_waitcnt vmcnt(7) lgkmcnt(4)
	v_mul_f64 v[80:81], v[55:56], v[17:18]
	;; [unrolled: 2-line block ×5, first 2 shown]
	v_mul_f64 v[10:11], v[53:54], v[10:11]
	v_mul_f64 v[17:18], v[57:58], v[17:18]
	;; [unrolled: 1-line block ×5, first 2 shown]
	v_fma_f64 v[47:48], v[53:54], v[8:9], -v[47:48]
	v_fma_f64 v[53:54], v[57:58], v[15:16], -v[80:81]
	;; [unrolled: 1-line block ×4, first 2 shown]
	ds_load_b128 v[80:83], v160 offset:12480
	ds_load_b128 v[84:87], v160 offset:18720
	;; [unrolled: 1-line block ×3, first 2 shown]
	s_waitcnt vmcnt(3) lgkmcnt(3)
	v_mul_f64 v[70:71], v[78:79], v[33:34]
	v_mul_f64 v[33:34], v[76:77], v[33:34]
	v_fma_f64 v[51:52], v[51:52], v[8:9], v[10:11]
	v_fma_f64 v[15:16], v[55:56], v[15:16], v[17:18]
	v_fma_f64 v[17:18], v[64:65], v[19:20], v[21:22]
	v_fma_f64 v[19:20], v[68:69], v[23:24], v[25:26]
	v_fma_f64 v[21:22], v[74:75], v[27:28], -v[92:93]
	v_fma_f64 v[27:28], v[72:73], v[27:28], v[29:30]
	s_waitcnt vmcnt(2) lgkmcnt(2)
	v_mul_f64 v[94:95], v[82:83], v[37:38]
	v_mul_f64 v[37:38], v[80:81], v[37:38]
	s_waitcnt vmcnt(1) lgkmcnt(1)
	v_mul_f64 v[96:97], v[86:87], v[41:42]
	s_waitcnt vmcnt(0) lgkmcnt(0)
	v_mul_f64 v[98:99], v[90:91], v[45:46]
	v_mul_f64 v[41:42], v[84:85], v[41:42]
	;; [unrolled: 1-line block ×3, first 2 shown]
	v_add_f64 v[8:9], v[53:54], v[57:58]
	v_add_f64 v[10:11], v[47:48], v[66:67]
	v_fma_f64 v[23:24], v[76:77], v[31:32], v[70:71]
	v_fma_f64 v[25:26], v[78:79], v[31:32], -v[33:34]
	v_add_f64 v[78:79], v[47:48], -v[66:67]
	v_add_f64 v[102:103], v[51:52], -v[15:16]
	v_add_f64 v[29:30], v[15:16], v[17:18]
	v_add_f64 v[55:56], v[15:16], -v[17:18]
	v_add_f64 v[104:105], v[19:20], -v[17:18]
	;; [unrolled: 1-line block ×3, first 2 shown]
	v_fma_f64 v[31:32], v[80:81], v[35:36], v[94:95]
	v_fma_f64 v[33:34], v[82:83], v[35:36], -v[37:38]
	v_fma_f64 v[35:36], v[84:85], v[39:40], v[96:97]
	v_fma_f64 v[37:38], v[88:89], v[43:44], v[98:99]
	v_fma_f64 v[39:40], v[86:87], v[39:40], -v[41:42]
	v_fma_f64 v[41:42], v[90:91], v[43:44], -v[45:46]
	v_add_f64 v[43:44], v[51:52], v[19:20]
	v_add_f64 v[45:46], v[51:52], -v[19:20]
	v_add_f64 v[80:81], v[47:48], -v[53:54]
	;; [unrolled: 1-line block ×6, first 2 shown]
	v_fma_f64 v[64:65], v[8:9], -0.5, v[21:22]
	v_fma_f64 v[68:69], v[10:11], -0.5, v[21:22]
	ds_load_b128 v[8:11], v160
	v_add_f64 v[21:22], v[21:22], v[47:48]
	s_waitcnt lgkmcnt(0)
	s_barrier
	buffer_gl0_inv
	v_fma_f64 v[29:30], v[29:30], -0.5, v[27:28]
	v_add_f64 v[108:109], v[25:26], -v[33:34]
	v_add_f64 v[70:71], v[31:32], v[35:36]
	v_add_f64 v[72:73], v[23:24], v[37:38]
	;; [unrolled: 1-line block ×4, first 2 shown]
	v_fma_f64 v[43:44], v[43:44], -0.5, v[27:28]
	v_add_f64 v[94:95], v[8:9], v[23:24]
	v_add_f64 v[100:101], v[10:11], v[25:26]
	;; [unrolled: 1-line block ×3, first 2 shown]
	v_add_f64 v[96:97], v[25:26], -v[41:42]
	v_add_f64 v[98:99], v[33:34], -v[39:40]
	;; [unrolled: 1-line block ×6, first 2 shown]
	v_fma_f64 v[90:91], v[45:46], s[0:1], v[64:65]
	v_fma_f64 v[92:93], v[55:56], s[2:3], v[68:69]
	;; [unrolled: 1-line block ×4, first 2 shown]
	v_add_f64 v[21:22], v[21:22], v[53:54]
	v_fma_f64 v[47:48], v[70:71], -0.5, v[8:9]
	v_add_f64 v[70:71], v[23:24], -v[37:38]
	v_fma_f64 v[8:9], v[72:73], -0.5, v[8:9]
	v_add_f64 v[72:73], v[31:32], -v[35:36]
	v_fma_f64 v[74:75], v[74:75], -0.5, v[10:11]
	v_fma_f64 v[10:11], v[76:77], -0.5, v[10:11]
	v_add_f64 v[76:77], v[80:81], v[82:83]
	v_add_f64 v[80:81], v[84:85], v[86:87]
	v_fma_f64 v[82:83], v[78:79], s[2:3], v[29:30]
	v_fma_f64 v[29:30], v[78:79], s[0:1], v[29:30]
	;; [unrolled: 1-line block ×4, first 2 shown]
	v_add_f64 v[33:34], v[100:101], v[33:34]
	v_add_f64 v[15:16], v[27:28], v[15:16]
	;; [unrolled: 1-line block ×4, first 2 shown]
	v_fma_f64 v[86:87], v[55:56], s[6:7], v[90:91]
	v_fma_f64 v[90:91], v[45:46], s[6:7], v[92:93]
	;; [unrolled: 1-line block ×4, first 2 shown]
	v_add_f64 v[64:65], v[23:24], -v[31:32]
	v_add_f64 v[23:24], v[31:32], -v[23:24]
	v_add_f64 v[31:32], v[94:95], v[31:32]
	v_add_f64 v[68:69], v[37:38], -v[35:36]
	v_add_f64 v[92:93], v[35:36], -v[37:38]
	v_add_f64 v[25:26], v[25:26], v[112:113]
	v_fma_f64 v[53:54], v[96:97], s[2:3], v[47:48]
	v_fma_f64 v[47:48], v[96:97], s[0:1], v[47:48]
	;; [unrolled: 1-line block ×12, first 2 shown]
	v_add_f64 v[33:34], v[33:34], v[39:40]
	v_add_f64 v[15:16], v[15:16], v[17:18]
	;; [unrolled: 1-line block ×3, first 2 shown]
	v_fma_f64 v[78:79], v[76:77], s[12:13], v[86:87]
	v_fma_f64 v[86:87], v[80:81], s[12:13], v[90:91]
	v_fma_f64 v[45:46], v[80:81], s[12:13], v[45:46]
	v_fma_f64 v[55:56], v[76:77], s[12:13], v[55:56]
	v_add_f64 v[31:32], v[31:32], v[35:36]
	v_add_f64 v[64:65], v[64:65], v[68:69]
	;; [unrolled: 1-line block ×4, first 2 shown]
	v_fma_f64 v[21:22], v[98:99], s[10:11], v[53:54]
	v_fma_f64 v[35:36], v[98:99], s[6:7], v[47:48]
	;; [unrolled: 1-line block ×12, first 2 shown]
	v_add_f64 v[33:34], v[33:34], v[41:42]
	v_add_f64 v[19:20], v[15:16], v[19:20]
	v_mul_f64 v[51:52], v[78:79], s[10:11]
	v_mul_f64 v[78:79], v[78:79], s[14:15]
	;; [unrolled: 1-line block ×8, first 2 shown]
	v_add_f64 v[31:32], v[31:32], v[37:38]
	v_add_f64 v[37:38], v[17:18], v[66:67]
	v_fma_f64 v[41:42], v[64:65], s[12:13], v[21:22]
	v_fma_f64 v[64:65], v[64:65], s[12:13], v[35:36]
	;; [unrolled: 1-line block ×16, first 2 shown]
	v_add_f64 v[15:16], v[31:32], v[19:20]
	v_add_f64 v[17:18], v[33:34], v[37:38]
	v_add_f64 v[19:20], v[31:32], -v[19:20]
	v_add_f64 v[21:22], v[33:34], -v[37:38]
	v_cmp_gt_u32_e64 s0, 0x41, v60
	v_add_f64 v[23:24], v[41:42], v[39:40]
	v_add_f64 v[25:26], v[47:48], v[70:71]
	;; [unrolled: 1-line block ×8, first 2 shown]
	v_add_f64 v[39:40], v[41:42], -v[39:40]
	v_add_f64 v[41:42], v[47:48], -v[70:71]
	;; [unrolled: 1-line block ×8, first 2 shown]
	ds_store_b128 v12, v[15:18]
	ds_store_b128 v12, v[23:26] offset:1040
	ds_store_b128 v12, v[27:30] offset:2080
	;; [unrolled: 1-line block ×9, first 2 shown]
	s_waitcnt lgkmcnt(0)
	s_barrier
	buffer_gl0_inv
	ds_load_b128 v[20:23], v160
	ds_load_b128 v[12:15], v160 offset:3120
	ds_load_b128 v[36:39], v160 offset:20800
	ds_load_b128 v[24:27], v160 offset:23920
	ds_load_b128 v[44:47], v160 offset:10400
	ds_load_b128 v[16:19], v160 offset:6240
	ds_load_b128 v[40:43], v160 offset:13520
	ds_load_b128 v[28:31], v160 offset:16640
	ds_load_b128 v[32:35], v160 offset:27040
	s_and_saveexec_b32 s1, s0
	s_cbranch_execz .LBB0_21
; %bb.20:
	ds_load_b128 v[8:11], v160 offset:9360
	ds_load_b128 v[0:3], v160 offset:19760
	;; [unrolled: 1-line block ×3, first 2 shown]
.LBB0_21:
	s_or_b32 exec_lo, exec_lo, s1
	v_dual_mov_b32 v49, 0 :: v_dual_lshlrev_b32 v48, 1, v60
	v_lshlrev_b32_e32 v50, 1, v50
	s_mov_b32 s2, 0xe8584caa
	s_mov_b32 s3, 0xbfebb67a
	s_mov_b32 s7, 0x3febb67a
	v_lshlrev_b64 v[51:52], 4, v[48:49]
	v_add_nc_u32_e32 v48, 0x30c, v48
	s_mov_b32 s6, s2
	s_delay_alu instid0(VALU_DEP_2) | instskip(SKIP_1) | instid1(VALU_DEP_4)
	v_add_co_u32 v54, s1, s4, v51
	v_mov_b32_e32 v51, v49
	v_add_co_ci_u32_e64 v55, s1, s5, v52, s1
	s_delay_alu instid0(VALU_DEP_3) | instskip(NEXT) | instid1(VALU_DEP_3)
	v_add_co_u32 v52, s1, 0x2000, v54
	v_lshlrev_b64 v[58:59], 4, v[50:51]
	s_delay_alu instid0(VALU_DEP_3) | instskip(SKIP_1) | instid1(VALU_DEP_1)
	v_add_co_ci_u32_e64 v53, s1, 0, v55, s1
	v_add_co_u32 v54, s1, 0x27d0, v54
	v_add_co_ci_u32_e64 v55, s1, 0, v55, s1
	s_delay_alu instid0(VALU_DEP_4) | instskip(NEXT) | instid1(VALU_DEP_1)
	v_add_co_u32 v61, s1, s4, v58
	v_add_co_ci_u32_e64 v64, s1, s5, v59, s1
	v_lshlrev_b64 v[58:59], 4, v[48:49]
	s_delay_alu instid0(VALU_DEP_3) | instskip(NEXT) | instid1(VALU_DEP_1)
	v_add_co_u32 v68, s1, 0x27d0, v61
	v_add_co_ci_u32_e64 v69, s1, 0, v64, s1
	s_clause 0x1
	global_load_b128 v[50:53], v[52:53], off offset:2000
	global_load_b128 v[54:57], v[54:55], off offset:16
	v_add_co_u32 v48, s1, s4, v58
	s_delay_alu instid0(VALU_DEP_1) | instskip(SKIP_1) | instid1(VALU_DEP_1)
	v_add_co_ci_u32_e64 v65, s1, s5, v59, s1
	v_add_co_u32 v58, s1, 0x2000, v61
	v_add_co_ci_u32_e64 v59, s1, 0, v64, s1
	s_delay_alu instid0(VALU_DEP_4) | instskip(NEXT) | instid1(VALU_DEP_1)
	v_add_co_u32 v76, s1, 0x27d0, v48
	v_add_co_ci_u32_e64 v77, s1, 0, v65, s1
	v_add_co_u32 v72, s1, 0x2000, v48
	s_delay_alu instid0(VALU_DEP_1)
	v_add_co_ci_u32_e64 v73, s1, 0, v65, s1
	s_clause 0x3
	global_load_b128 v[64:67], v[58:59], off offset:2000
	global_load_b128 v[68:71], v[68:69], off offset:16
	;; [unrolled: 1-line block ×4, first 2 shown]
	s_waitcnt vmcnt(0) lgkmcnt(0)
	s_barrier
	buffer_gl0_inv
	v_mul_f64 v[58:59], v[46:47], v[52:53]
	v_mul_f64 v[80:81], v[38:39], v[56:57]
	;; [unrolled: 1-line block ×12, first 2 shown]
	v_fma_f64 v[44:45], v[44:45], v[50:51], v[58:59]
	v_fma_f64 v[36:37], v[36:37], v[54:55], v[80:81]
	v_fma_f64 v[46:47], v[46:47], v[50:51], -v[52:53]
	v_fma_f64 v[38:39], v[38:39], v[54:55], -v[56:57]
	v_fma_f64 v[40:41], v[40:41], v[64:65], v[82:83]
	v_fma_f64 v[24:25], v[24:25], v[68:69], v[84:85]
	v_fma_f64 v[42:43], v[42:43], v[64:65], -v[66:67]
	v_fma_f64 v[26:27], v[26:27], v[68:69], -v[70:71]
	;; [unrolled: 4-line block ×3, first 2 shown]
	v_add_f64 v[66:67], v[20:21], v[44:45]
	v_add_f64 v[50:51], v[44:45], v[36:37]
	v_add_f64 v[44:45], v[44:45], -v[36:37]
	v_add_f64 v[52:53], v[46:47], v[38:39]
	v_add_f64 v[68:69], v[46:47], -v[38:39]
	v_add_f64 v[46:47], v[22:23], v[46:47]
	v_add_f64 v[70:71], v[12:13], v[40:41]
	;; [unrolled: 1-line block ×9, first 2 shown]
	v_add_f64 v[42:43], v[42:43], -v[26:27]
	v_add_f64 v[40:41], v[40:41], -v[24:25]
	;; [unrolled: 1-line block ×4, first 2 shown]
	v_fma_f64 v[50:51], v[50:51], -0.5, v[20:21]
	v_fma_f64 v[52:53], v[52:53], -0.5, v[22:23]
	;; [unrolled: 1-line block ×3, first 2 shown]
	v_add_f64 v[12:13], v[66:67], v[36:37]
	v_fma_f64 v[56:57], v[56:57], -0.5, v[14:15]
	v_add_f64 v[14:15], v[46:47], v[38:39]
	v_fma_f64 v[58:59], v[58:59], -0.5, v[16:17]
	;; [unrolled: 2-line block ×3, first 2 shown]
	v_add_f64 v[18:19], v[72:73], v[26:27]
	v_add_f64 v[20:21], v[74:75], v[32:33]
	;; [unrolled: 1-line block ×3, first 2 shown]
	v_fma_f64 v[24:25], v[68:69], s[2:3], v[50:51]
	v_fma_f64 v[28:29], v[68:69], s[6:7], v[50:51]
	v_fma_f64 v[26:27], v[44:45], s[6:7], v[52:53]
	v_fma_f64 v[30:31], v[44:45], s[2:3], v[52:53]
	v_fma_f64 v[36:37], v[42:43], s[6:7], v[54:55]
	v_fma_f64 v[32:33], v[42:43], s[2:3], v[54:55]
	v_fma_f64 v[38:39], v[40:41], s[2:3], v[56:57]
	v_fma_f64 v[34:35], v[40:41], s[6:7], v[56:57]
	v_fma_f64 v[40:41], v[78:79], s[2:3], v[58:59]
	v_fma_f64 v[44:45], v[78:79], s[6:7], v[58:59]
	v_fma_f64 v[42:43], v[80:81], s[6:7], v[64:65]
	v_fma_f64 v[46:47], v[80:81], s[2:3], v[64:65]
	ds_store_b128 v160, v[12:15]
	ds_store_b128 v160, v[16:19] offset:3120
	ds_store_b128 v160, v[24:27] offset:10400
	;; [unrolled: 1-line block ×8, first 2 shown]
	s_and_saveexec_b32 s1, s0
	s_cbranch_execz .LBB0_23
; %bb.22:
	v_mov_b32_e32 v12, 0x249
	s_delay_alu instid0(VALU_DEP_1) | instskip(NEXT) | instid1(VALU_DEP_1)
	v_cndmask_b32_e64 v12, 0xffffffbf, v12, s0
	v_add_lshl_u32 v48, v60, v12, 1
	s_delay_alu instid0(VALU_DEP_1) | instskip(NEXT) | instid1(VALU_DEP_1)
	v_lshlrev_b64 v[12:13], 4, v[48:49]
	v_add_co_u32 v14, s0, s4, v12
	s_delay_alu instid0(VALU_DEP_1) | instskip(NEXT) | instid1(VALU_DEP_2)
	v_add_co_ci_u32_e64 v15, s0, s5, v13, s0
	v_add_co_u32 v12, s0, 0x2000, v14
	s_delay_alu instid0(VALU_DEP_1) | instskip(SKIP_1) | instid1(VALU_DEP_1)
	v_add_co_ci_u32_e64 v13, s0, 0, v15, s0
	v_add_co_u32 v16, s0, 0x27d0, v14
	v_add_co_ci_u32_e64 v17, s0, 0, v15, s0
	s_clause 0x1
	global_load_b128 v[12:15], v[12:13], off offset:2000
	global_load_b128 v[16:19], v[16:17], off offset:16
	s_waitcnt vmcnt(1)
	v_mul_f64 v[20:21], v[0:1], v[14:15]
	s_waitcnt vmcnt(0)
	v_mul_f64 v[22:23], v[4:5], v[18:19]
	v_mul_f64 v[14:15], v[2:3], v[14:15]
	;; [unrolled: 1-line block ×3, first 2 shown]
	s_delay_alu instid0(VALU_DEP_4) | instskip(NEXT) | instid1(VALU_DEP_4)
	v_fma_f64 v[2:3], v[2:3], v[12:13], -v[20:21]
	v_fma_f64 v[6:7], v[6:7], v[16:17], -v[22:23]
	s_delay_alu instid0(VALU_DEP_4) | instskip(NEXT) | instid1(VALU_DEP_4)
	v_fma_f64 v[0:1], v[0:1], v[12:13], v[14:15]
	v_fma_f64 v[4:5], v[4:5], v[16:17], v[18:19]
	s_delay_alu instid0(VALU_DEP_4) | instskip(NEXT) | instid1(VALU_DEP_4)
	v_add_f64 v[18:19], v[10:11], v[2:3]
	v_add_f64 v[12:13], v[2:3], v[6:7]
	s_delay_alu instid0(VALU_DEP_3) | instskip(SKIP_2) | instid1(VALU_DEP_4)
	v_add_f64 v[14:15], v[0:1], v[4:5]
	v_add_f64 v[16:17], v[0:1], -v[4:5]
	v_add_f64 v[0:1], v[8:9], v[0:1]
	v_fma_f64 v[10:11], v[12:13], -0.5, v[10:11]
	v_add_f64 v[12:13], v[2:3], -v[6:7]
	v_fma_f64 v[14:15], v[14:15], -0.5, v[8:9]
	v_add_f64 v[2:3], v[18:19], v[6:7]
	v_add_f64 v[0:1], v[0:1], v[4:5]
	v_fma_f64 v[6:7], v[16:17], s[2:3], v[10:11]
	v_fma_f64 v[10:11], v[16:17], s[6:7], v[10:11]
	;; [unrolled: 1-line block ×4, first 2 shown]
	ds_store_b128 v160, v[0:3] offset:9360
	ds_store_b128 v160, v[8:11] offset:19760
	ds_store_b128 v160, v[4:7] offset:30160
.LBB0_23:
	s_or_b32 exec_lo, exec_lo, s1
	s_waitcnt lgkmcnt(0)
	s_barrier
	buffer_gl0_inv
	s_and_saveexec_b32 s0, vcc_lo
	s_cbranch_execz .LBB0_25
; %bb.24:
	v_dual_mov_b32 v61, 0 :: v_dual_add_nc_u32 v8, 0xc3, v60
	v_add_co_u32 v36, vcc_lo, s8, v62
	v_lshl_add_u32 v34, v60, 4, 0
	s_delay_alu instid0(VALU_DEP_3) | instskip(SKIP_3) | instid1(VALU_DEP_4)
	v_lshlrev_b64 v[0:1], 4, v[60:61]
	v_add_co_ci_u32_e32 v37, vcc_lo, s9, v63, vcc_lo
	v_dual_mov_b32 v9, v61 :: v_dual_add_nc_u32 v10, 0x186, v60
	v_dual_mov_b32 v11, v61 :: v_dual_add_nc_u32 v22, 0x249, v60
	v_add_co_u32 v16, vcc_lo, v36, v0
	s_delay_alu instid0(VALU_DEP_4)
	v_add_co_ci_u32_e32 v17, vcc_lo, v37, v1, vcc_lo
	ds_load_b128 v[0:3], v34
	ds_load_b128 v[4:7], v34 offset:3120
	v_lshlrev_b64 v[18:19], 4, v[8:9]
	v_lshlrev_b64 v[20:21], 4, v[10:11]
	ds_load_b128 v[8:11], v34 offset:6240
	ds_load_b128 v[12:15], v34 offset:9360
	v_dual_mov_b32 v23, v61 :: v_dual_add_nc_u32 v24, 0x30c, v60
	v_mov_b32_e32 v25, v61
	v_add_co_u32 v18, vcc_lo, v36, v18
	s_delay_alu instid0(VALU_DEP_3) | instskip(SKIP_3) | instid1(VALU_DEP_4)
	v_lshlrev_b64 v[22:23], 4, v[22:23]
	v_add_co_ci_u32_e32 v19, vcc_lo, v37, v19, vcc_lo
	v_add_co_u32 v20, vcc_lo, v36, v20
	v_add_co_ci_u32_e32 v21, vcc_lo, v37, v21, vcc_lo
	v_add_co_u32 v22, vcc_lo, v36, v22
	s_waitcnt lgkmcnt(3)
	global_store_b128 v[16:17], v[0:3], off
	s_waitcnt lgkmcnt(2)
	global_store_b128 v[18:19], v[4:7], off
	v_dual_mov_b32 v3, v61 :: v_dual_add_nc_u32 v2, 0x3cf, v60
	v_add_co_ci_u32_e32 v23, vcc_lo, v37, v23, vcc_lo
	v_lshlrev_b64 v[0:1], 4, v[24:25]
	s_waitcnt lgkmcnt(1)
	global_store_b128 v[20:21], v[8:11], off
	s_waitcnt lgkmcnt(0)
	global_store_b128 v[22:23], v[12:15], off
	v_add_nc_u32_e32 v10, 0x492, v60
	v_lshlrev_b64 v[8:9], 4, v[2:3]
	v_dual_mov_b32 v11, v61 :: v_dual_add_nc_u32 v16, 0x555, v60
	v_add_co_u32 v24, vcc_lo, v36, v0
	v_add_co_ci_u32_e32 v25, vcc_lo, v37, v1, vcc_lo
	s_delay_alu instid0(VALU_DEP_4)
	v_add_co_u32 v26, vcc_lo, v36, v8
	v_add_co_ci_u32_e32 v27, vcc_lo, v37, v9, vcc_lo
	v_lshlrev_b64 v[8:9], 4, v[10:11]
	v_dual_mov_b32 v17, v61 :: v_dual_add_nc_u32 v18, 0x618, v60
	v_dual_mov_b32 v19, v61 :: v_dual_add_nc_u32 v60, 0x6db, v60
	ds_load_b128 v[0:3], v34 offset:12480
	ds_load_b128 v[4:7], v34 offset:15600
	v_add_co_u32 v28, vcc_lo, v36, v8
	v_add_co_ci_u32_e32 v29, vcc_lo, v37, v9, vcc_lo
	ds_load_b128 v[8:11], v34 offset:18720
	ds_load_b128 v[12:15], v34 offset:21840
	v_lshlrev_b64 v[30:31], 4, v[16:17]
	v_lshlrev_b64 v[32:33], 4, v[18:19]
	ds_load_b128 v[16:19], v34 offset:24960
	ds_load_b128 v[20:23], v34 offset:28080
	v_lshlrev_b64 v[34:35], 4, v[60:61]
	v_add_co_u32 v30, vcc_lo, v36, v30
	v_add_co_ci_u32_e32 v31, vcc_lo, v37, v31, vcc_lo
	v_add_co_u32 v32, vcc_lo, v36, v32
	v_add_co_ci_u32_e32 v33, vcc_lo, v37, v33, vcc_lo
	;; [unrolled: 2-line block ×3, first 2 shown]
	s_waitcnt lgkmcnt(5)
	global_store_b128 v[24:25], v[0:3], off
	s_waitcnt lgkmcnt(4)
	global_store_b128 v[26:27], v[4:7], off
	;; [unrolled: 2-line block ×6, first 2 shown]
.LBB0_25:
	s_nop 0
	s_sendmsg sendmsg(MSG_DEALLOC_VGPRS)
	s_endpgm
	.section	.rodata,"a",@progbits
	.p2align	6, 0x0
	.amdhsa_kernel fft_rtc_back_len1950_factors_13_5_10_3_wgs_195_tpt_195_dp_ip_CI_unitstride_sbrr_C2R_dirReg
		.amdhsa_group_segment_fixed_size 0
		.amdhsa_private_segment_fixed_size 0
		.amdhsa_kernarg_size 88
		.amdhsa_user_sgpr_count 15
		.amdhsa_user_sgpr_dispatch_ptr 0
		.amdhsa_user_sgpr_queue_ptr 0
		.amdhsa_user_sgpr_kernarg_segment_ptr 1
		.amdhsa_user_sgpr_dispatch_id 0
		.amdhsa_user_sgpr_private_segment_size 0
		.amdhsa_wavefront_size32 1
		.amdhsa_uses_dynamic_stack 0
		.amdhsa_enable_private_segment 0
		.amdhsa_system_sgpr_workgroup_id_x 1
		.amdhsa_system_sgpr_workgroup_id_y 0
		.amdhsa_system_sgpr_workgroup_id_z 0
		.amdhsa_system_sgpr_workgroup_info 0
		.amdhsa_system_vgpr_workitem_id 0
		.amdhsa_next_free_vgpr 237
		.amdhsa_next_free_sgpr 38
		.amdhsa_reserve_vcc 1
		.amdhsa_float_round_mode_32 0
		.amdhsa_float_round_mode_16_64 0
		.amdhsa_float_denorm_mode_32 3
		.amdhsa_float_denorm_mode_16_64 3
		.amdhsa_dx10_clamp 1
		.amdhsa_ieee_mode 1
		.amdhsa_fp16_overflow 0
		.amdhsa_workgroup_processor_mode 1
		.amdhsa_memory_ordered 1
		.amdhsa_forward_progress 0
		.amdhsa_shared_vgpr_count 0
		.amdhsa_exception_fp_ieee_invalid_op 0
		.amdhsa_exception_fp_denorm_src 0
		.amdhsa_exception_fp_ieee_div_zero 0
		.amdhsa_exception_fp_ieee_overflow 0
		.amdhsa_exception_fp_ieee_underflow 0
		.amdhsa_exception_fp_ieee_inexact 0
		.amdhsa_exception_int_div_zero 0
	.end_amdhsa_kernel
	.text
.Lfunc_end0:
	.size	fft_rtc_back_len1950_factors_13_5_10_3_wgs_195_tpt_195_dp_ip_CI_unitstride_sbrr_C2R_dirReg, .Lfunc_end0-fft_rtc_back_len1950_factors_13_5_10_3_wgs_195_tpt_195_dp_ip_CI_unitstride_sbrr_C2R_dirReg
                                        ; -- End function
	.section	.AMDGPU.csdata,"",@progbits
; Kernel info:
; codeLenInByte = 12544
; NumSgprs: 40
; NumVgprs: 237
; ScratchSize: 0
; MemoryBound: 0
; FloatMode: 240
; IeeeMode: 1
; LDSByteSize: 0 bytes/workgroup (compile time only)
; SGPRBlocks: 4
; VGPRBlocks: 29
; NumSGPRsForWavesPerEU: 40
; NumVGPRsForWavesPerEU: 237
; Occupancy: 6
; WaveLimiterHint : 1
; COMPUTE_PGM_RSRC2:SCRATCH_EN: 0
; COMPUTE_PGM_RSRC2:USER_SGPR: 15
; COMPUTE_PGM_RSRC2:TRAP_HANDLER: 0
; COMPUTE_PGM_RSRC2:TGID_X_EN: 1
; COMPUTE_PGM_RSRC2:TGID_Y_EN: 0
; COMPUTE_PGM_RSRC2:TGID_Z_EN: 0
; COMPUTE_PGM_RSRC2:TIDIG_COMP_CNT: 0
	.text
	.p2alignl 7, 3214868480
	.fill 96, 4, 3214868480
	.type	__hip_cuid_7f16be9b497ab520,@object ; @__hip_cuid_7f16be9b497ab520
	.section	.bss,"aw",@nobits
	.globl	__hip_cuid_7f16be9b497ab520
__hip_cuid_7f16be9b497ab520:
	.byte	0                               ; 0x0
	.size	__hip_cuid_7f16be9b497ab520, 1

	.ident	"AMD clang version 19.0.0git (https://github.com/RadeonOpenCompute/llvm-project roc-6.4.0 25133 c7fe45cf4b819c5991fe208aaa96edf142730f1d)"
	.section	".note.GNU-stack","",@progbits
	.addrsig
	.addrsig_sym __hip_cuid_7f16be9b497ab520
	.amdgpu_metadata
---
amdhsa.kernels:
  - .args:
      - .actual_access:  read_only
        .address_space:  global
        .offset:         0
        .size:           8
        .value_kind:     global_buffer
      - .offset:         8
        .size:           8
        .value_kind:     by_value
      - .actual_access:  read_only
        .address_space:  global
        .offset:         16
        .size:           8
        .value_kind:     global_buffer
      - .actual_access:  read_only
        .address_space:  global
        .offset:         24
        .size:           8
        .value_kind:     global_buffer
      - .offset:         32
        .size:           8
        .value_kind:     by_value
      - .actual_access:  read_only
        .address_space:  global
        .offset:         40
        .size:           8
        .value_kind:     global_buffer
      - .actual_access:  read_only
        .address_space:  global
        .offset:         48
        .size:           8
        .value_kind:     global_buffer
      - .offset:         56
        .size:           4
        .value_kind:     by_value
      - .actual_access:  read_only
        .address_space:  global
        .offset:         64
        .size:           8
        .value_kind:     global_buffer
      - .actual_access:  read_only
        .address_space:  global
        .offset:         72
        .size:           8
        .value_kind:     global_buffer
      - .address_space:  global
        .offset:         80
        .size:           8
        .value_kind:     global_buffer
    .group_segment_fixed_size: 0
    .kernarg_segment_align: 8
    .kernarg_segment_size: 88
    .language:       OpenCL C
    .language_version:
      - 2
      - 0
    .max_flat_workgroup_size: 195
    .name:           fft_rtc_back_len1950_factors_13_5_10_3_wgs_195_tpt_195_dp_ip_CI_unitstride_sbrr_C2R_dirReg
    .private_segment_fixed_size: 0
    .sgpr_count:     40
    .sgpr_spill_count: 0
    .symbol:         fft_rtc_back_len1950_factors_13_5_10_3_wgs_195_tpt_195_dp_ip_CI_unitstride_sbrr_C2R_dirReg.kd
    .uniform_work_group_size: 1
    .uses_dynamic_stack: false
    .vgpr_count:     237
    .vgpr_spill_count: 0
    .wavefront_size: 32
    .workgroup_processor_mode: 1
amdhsa.target:   amdgcn-amd-amdhsa--gfx1100
amdhsa.version:
  - 1
  - 2
...

	.end_amdgpu_metadata
